;; amdgpu-corpus repo=ROCm/rocFFT kind=compiled arch=gfx906 opt=O3
	.text
	.amdgcn_target "amdgcn-amd-amdhsa--gfx906"
	.amdhsa_code_object_version 6
	.protected	fft_rtc_back_len1575_factors_3_3_5_7_5_wgs_63_tpt_63_halfLds_half_op_CI_CI_sbrr_dirReg ; -- Begin function fft_rtc_back_len1575_factors_3_3_5_7_5_wgs_63_tpt_63_halfLds_half_op_CI_CI_sbrr_dirReg
	.globl	fft_rtc_back_len1575_factors_3_3_5_7_5_wgs_63_tpt_63_halfLds_half_op_CI_CI_sbrr_dirReg
	.p2align	8
	.type	fft_rtc_back_len1575_factors_3_3_5_7_5_wgs_63_tpt_63_halfLds_half_op_CI_CI_sbrr_dirReg,@function
fft_rtc_back_len1575_factors_3_3_5_7_5_wgs_63_tpt_63_halfLds_half_op_CI_CI_sbrr_dirReg: ; @fft_rtc_back_len1575_factors_3_3_5_7_5_wgs_63_tpt_63_halfLds_half_op_CI_CI_sbrr_dirReg
; %bb.0:
	s_load_dwordx4 s[16:19], s[4:5], 0x18
	s_load_dwordx4 s[12:15], s[4:5], 0x0
	;; [unrolled: 1-line block ×3, first 2 shown]
	v_mul_u32_u24_e32 v1, 0x411, v0
	v_mov_b32_e32 v7, 0
	s_waitcnt lgkmcnt(0)
	s_load_dwordx2 s[2:3], s[16:17], 0x0
	s_load_dwordx2 s[20:21], s[18:19], 0x0
	v_cmp_lt_u64_e64 s[0:1], s[14:15], 2
	v_mov_b32_e32 v5, 0
	v_add_u32_sdwa v9, s6, v1 dst_sel:DWORD dst_unused:UNUSED_PAD src0_sel:DWORD src1_sel:WORD_1
	v_mov_b32_e32 v10, v7
	s_and_b64 vcc, exec, s[0:1]
	v_mov_b32_e32 v6, 0
	s_cbranch_vccnz .LBB0_8
; %bb.1:
	s_load_dwordx2 s[0:1], s[4:5], 0x10
	s_add_u32 s6, s18, 8
	s_addc_u32 s7, s19, 0
	s_add_u32 s22, s16, 8
	s_addc_u32 s23, s17, 0
	v_mov_b32_e32 v5, 0
	s_waitcnt lgkmcnt(0)
	s_add_u32 s24, s0, 8
	v_mov_b32_e32 v6, 0
	v_mov_b32_e32 v1, v5
	s_addc_u32 s25, s1, 0
	s_mov_b64 s[26:27], 1
	v_mov_b32_e32 v2, v6
.LBB0_2:                                ; =>This Inner Loop Header: Depth=1
	s_load_dwordx2 s[28:29], s[24:25], 0x0
                                        ; implicit-def: $vgpr3_vgpr4
	s_waitcnt lgkmcnt(0)
	v_or_b32_e32 v8, s29, v10
	v_cmp_ne_u64_e32 vcc, 0, v[7:8]
	s_and_saveexec_b64 s[0:1], vcc
	s_xor_b64 s[30:31], exec, s[0:1]
	s_cbranch_execz .LBB0_4
; %bb.3:                                ;   in Loop: Header=BB0_2 Depth=1
	v_cvt_f32_u32_e32 v3, s28
	v_cvt_f32_u32_e32 v4, s29
	s_sub_u32 s0, 0, s28
	s_subb_u32 s1, 0, s29
	v_mac_f32_e32 v3, 0x4f800000, v4
	v_rcp_f32_e32 v3, v3
	v_mul_f32_e32 v3, 0x5f7ffffc, v3
	v_mul_f32_e32 v4, 0x2f800000, v3
	v_trunc_f32_e32 v4, v4
	v_mac_f32_e32 v3, 0xcf800000, v4
	v_cvt_u32_f32_e32 v4, v4
	v_cvt_u32_f32_e32 v3, v3
	v_mul_lo_u32 v8, s0, v4
	v_mul_hi_u32 v11, s0, v3
	v_mul_lo_u32 v13, s1, v3
	v_mul_lo_u32 v12, s0, v3
	v_add_u32_e32 v8, v11, v8
	v_add_u32_e32 v8, v8, v13
	v_mul_hi_u32 v11, v3, v12
	v_mul_lo_u32 v13, v3, v8
	v_mul_hi_u32 v15, v3, v8
	v_mul_hi_u32 v14, v4, v12
	v_mul_lo_u32 v12, v4, v12
	v_mul_hi_u32 v16, v4, v8
	v_add_co_u32_e32 v11, vcc, v11, v13
	v_addc_co_u32_e32 v13, vcc, 0, v15, vcc
	v_mul_lo_u32 v8, v4, v8
	v_add_co_u32_e32 v11, vcc, v11, v12
	v_addc_co_u32_e32 v11, vcc, v13, v14, vcc
	v_addc_co_u32_e32 v12, vcc, 0, v16, vcc
	v_add_co_u32_e32 v8, vcc, v11, v8
	v_addc_co_u32_e32 v11, vcc, 0, v12, vcc
	v_add_co_u32_e32 v3, vcc, v3, v8
	v_addc_co_u32_e32 v4, vcc, v4, v11, vcc
	v_mul_lo_u32 v8, s0, v4
	v_mul_hi_u32 v11, s0, v3
	v_mul_lo_u32 v12, s1, v3
	v_mul_lo_u32 v13, s0, v3
	v_add_u32_e32 v8, v11, v8
	v_add_u32_e32 v8, v8, v12
	v_mul_lo_u32 v14, v3, v8
	v_mul_hi_u32 v15, v3, v13
	v_mul_hi_u32 v16, v3, v8
	;; [unrolled: 1-line block ×3, first 2 shown]
	v_mul_lo_u32 v13, v4, v13
	v_mul_hi_u32 v11, v4, v8
	v_add_co_u32_e32 v14, vcc, v15, v14
	v_addc_co_u32_e32 v15, vcc, 0, v16, vcc
	v_mul_lo_u32 v8, v4, v8
	v_add_co_u32_e32 v13, vcc, v14, v13
	v_addc_co_u32_e32 v12, vcc, v15, v12, vcc
	v_addc_co_u32_e32 v11, vcc, 0, v11, vcc
	v_add_co_u32_e32 v8, vcc, v12, v8
	v_addc_co_u32_e32 v11, vcc, 0, v11, vcc
	v_add_co_u32_e32 v8, vcc, v3, v8
	v_addc_co_u32_e32 v11, vcc, v4, v11, vcc
	v_mad_u64_u32 v[3:4], s[0:1], v9, v11, 0
	v_mul_hi_u32 v12, v9, v8
	v_add_co_u32_e32 v13, vcc, v12, v3
	v_addc_co_u32_e32 v14, vcc, 0, v4, vcc
	v_mad_u64_u32 v[3:4], s[0:1], v10, v8, 0
	v_mad_u64_u32 v[11:12], s[0:1], v10, v11, 0
	v_add_co_u32_e32 v3, vcc, v13, v3
	v_addc_co_u32_e32 v3, vcc, v14, v4, vcc
	v_addc_co_u32_e32 v4, vcc, 0, v12, vcc
	v_add_co_u32_e32 v8, vcc, v3, v11
	v_addc_co_u32_e32 v11, vcc, 0, v4, vcc
	v_mul_lo_u32 v12, s29, v8
	v_mul_lo_u32 v13, s28, v11
	v_mad_u64_u32 v[3:4], s[0:1], s28, v8, 0
	v_add3_u32 v4, v4, v13, v12
	v_sub_u32_e32 v12, v10, v4
	v_mov_b32_e32 v13, s29
	v_sub_co_u32_e32 v3, vcc, v9, v3
	v_subb_co_u32_e64 v12, s[0:1], v12, v13, vcc
	v_subrev_co_u32_e64 v13, s[0:1], s28, v3
	v_subbrev_co_u32_e64 v12, s[0:1], 0, v12, s[0:1]
	v_cmp_le_u32_e64 s[0:1], s29, v12
	v_cndmask_b32_e64 v14, 0, -1, s[0:1]
	v_cmp_le_u32_e64 s[0:1], s28, v13
	v_cndmask_b32_e64 v13, 0, -1, s[0:1]
	v_cmp_eq_u32_e64 s[0:1], s29, v12
	v_cndmask_b32_e64 v12, v14, v13, s[0:1]
	v_add_co_u32_e64 v13, s[0:1], 2, v8
	v_addc_co_u32_e64 v14, s[0:1], 0, v11, s[0:1]
	v_add_co_u32_e64 v15, s[0:1], 1, v8
	v_addc_co_u32_e64 v16, s[0:1], 0, v11, s[0:1]
	v_subb_co_u32_e32 v4, vcc, v10, v4, vcc
	v_cmp_ne_u32_e64 s[0:1], 0, v12
	v_cmp_le_u32_e32 vcc, s29, v4
	v_cndmask_b32_e64 v12, v16, v14, s[0:1]
	v_cndmask_b32_e64 v14, 0, -1, vcc
	v_cmp_le_u32_e32 vcc, s28, v3
	v_cndmask_b32_e64 v3, 0, -1, vcc
	v_cmp_eq_u32_e32 vcc, s29, v4
	v_cndmask_b32_e32 v3, v14, v3, vcc
	v_cmp_ne_u32_e32 vcc, 0, v3
	v_cndmask_b32_e64 v3, v15, v13, s[0:1]
	v_cndmask_b32_e32 v4, v11, v12, vcc
	v_cndmask_b32_e32 v3, v8, v3, vcc
.LBB0_4:                                ;   in Loop: Header=BB0_2 Depth=1
	s_andn2_saveexec_b64 s[0:1], s[30:31]
	s_cbranch_execz .LBB0_6
; %bb.5:                                ;   in Loop: Header=BB0_2 Depth=1
	v_cvt_f32_u32_e32 v3, s28
	s_sub_i32 s30, 0, s28
	v_rcp_iflag_f32_e32 v3, v3
	v_mul_f32_e32 v3, 0x4f7ffffe, v3
	v_cvt_u32_f32_e32 v3, v3
	v_mul_lo_u32 v4, s30, v3
	v_mul_hi_u32 v4, v3, v4
	v_add_u32_e32 v3, v3, v4
	v_mul_hi_u32 v3, v9, v3
	v_mul_lo_u32 v4, v3, s28
	v_add_u32_e32 v8, 1, v3
	v_sub_u32_e32 v4, v9, v4
	v_subrev_u32_e32 v11, s28, v4
	v_cmp_le_u32_e32 vcc, s28, v4
	v_cndmask_b32_e32 v4, v4, v11, vcc
	v_cndmask_b32_e32 v3, v3, v8, vcc
	v_add_u32_e32 v8, 1, v3
	v_cmp_le_u32_e32 vcc, s28, v4
	v_cndmask_b32_e32 v3, v3, v8, vcc
	v_mov_b32_e32 v4, v7
.LBB0_6:                                ;   in Loop: Header=BB0_2 Depth=1
	s_or_b64 exec, exec, s[0:1]
	v_mul_lo_u32 v8, v4, s28
	v_mul_lo_u32 v13, v3, s29
	v_mad_u64_u32 v[11:12], s[0:1], v3, s28, 0
	s_load_dwordx2 s[0:1], s[22:23], 0x0
	s_load_dwordx2 s[28:29], s[6:7], 0x0
	v_add3_u32 v8, v12, v13, v8
	v_sub_co_u32_e32 v9, vcc, v9, v11
	v_subb_co_u32_e32 v8, vcc, v10, v8, vcc
	s_waitcnt lgkmcnt(0)
	v_mul_lo_u32 v10, s0, v8
	v_mul_lo_u32 v11, s1, v9
	v_mad_u64_u32 v[5:6], s[0:1], s0, v9, v[5:6]
	v_mul_lo_u32 v8, s28, v8
	v_mul_lo_u32 v12, s29, v9
	v_mad_u64_u32 v[1:2], s[0:1], s28, v9, v[1:2]
	s_add_u32 s26, s26, 1
	s_addc_u32 s27, s27, 0
	s_add_u32 s6, s6, 8
	v_add3_u32 v2, v12, v2, v8
	s_addc_u32 s7, s7, 0
	v_mov_b32_e32 v8, s14
	s_add_u32 s22, s22, 8
	v_mov_b32_e32 v9, s15
	s_addc_u32 s23, s23, 0
	v_cmp_ge_u64_e32 vcc, s[26:27], v[8:9]
	s_add_u32 s24, s24, 8
	v_add3_u32 v6, v11, v6, v10
	s_addc_u32 s25, s25, 0
	s_cbranch_vccnz .LBB0_9
; %bb.7:                                ;   in Loop: Header=BB0_2 Depth=1
	v_mov_b32_e32 v10, v4
	v_mov_b32_e32 v9, v3
	s_branch .LBB0_2
.LBB0_8:
	v_mov_b32_e32 v1, v5
	v_mov_b32_e32 v3, v9
	;; [unrolled: 1-line block ×4, first 2 shown]
.LBB0_9:
	s_load_dwordx2 s[0:1], s[4:5], 0x28
	s_lshl_b64 s[14:15], s[14:15], 3
	s_add_u32 s4, s18, s14
	s_addc_u32 s5, s19, s15
                                        ; implicit-def: $vgpr11
                                        ; implicit-def: $vgpr10
                                        ; implicit-def: $vgpr13
                                        ; implicit-def: $vgpr14
                                        ; implicit-def: $vgpr19
                                        ; implicit-def: $vgpr20
                                        ; implicit-def: $vgpr21
                                        ; implicit-def: $vgpr22
	s_waitcnt lgkmcnt(0)
	v_cmp_gt_u64_e32 vcc, s[0:1], v[3:4]
	v_cmp_le_u64_e64 s[0:1], s[0:1], v[3:4]
	s_and_saveexec_b64 s[6:7], s[0:1]
	s_xor_b64 s[0:1], exec, s[6:7]
; %bb.10:
	s_mov_b32 s6, 0x4104105
	v_mul_hi_u32 v5, v0, s6
	v_mul_u32_u24_e32 v5, 63, v5
	v_sub_u32_e32 v11, v0, v5
	v_add_u32_e32 v10, 63, v11
	v_add_u32_e32 v13, 0x7e, v11
	;; [unrolled: 1-line block ×7, first 2 shown]
                                        ; implicit-def: $vgpr0
                                        ; implicit-def: $vgpr5_vgpr6
; %bb.11:
	s_or_saveexec_b64 s[6:7], s[0:1]
	s_load_dwordx2 s[4:5], s[4:5], 0x0
                                        ; implicit-def: $vgpr48
                                        ; implicit-def: $vgpr7
                                        ; implicit-def: $vgpr50
                                        ; implicit-def: $vgpr16
                                        ; implicit-def: $vgpr54
                                        ; implicit-def: $vgpr17
                                        ; implicit-def: $vgpr51
                                        ; implicit-def: $vgpr15
                                        ; implicit-def: $vgpr52
                                        ; implicit-def: $vgpr12
                                        ; implicit-def: $vgpr55
                                        ; implicit-def: $vgpr24
                                        ; implicit-def: $vgpr53
                                        ; implicit-def: $vgpr35
                                        ; implicit-def: $vgpr57
                                        ; implicit-def: $vgpr25
                                        ; implicit-def: $vgpr59
                                        ; implicit-def: $vgpr23
                                        ; implicit-def: $vgpr56
                                        ; implicit-def: $vgpr27
                                        ; implicit-def: $vgpr61
                                        ; implicit-def: $vgpr30
                                        ; implicit-def: $vgpr58
                                        ; implicit-def: $vgpr43
                                        ; implicit-def: $vgpr60
                                        ; implicit-def: $vgpr42
                                        ; implicit-def: $vgpr63
                                        ; implicit-def: $vgpr29
                                        ; implicit-def: $vgpr66
                                        ; implicit-def: $vgpr31
                                        ; implicit-def: $vgpr39
                                        ; implicit-def: $vgpr36
                                        ; implicit-def: $vgpr40
                                        ; implicit-def: $vgpr37
                                        ; implicit-def: $vgpr38
                                        ; implicit-def: $vgpr44
                                        ; implicit-def: $vgpr70
                                        ; implicit-def: $vgpr32
                                        ; implicit-def: $vgpr71
                                        ; implicit-def: $vgpr33
                                        ; implicit-def: $vgpr74
                                        ; implicit-def: $vgpr34
                                        ; implicit-def: $vgpr76
                                        ; implicit-def: $vgpr26
                                        ; implicit-def: $vgpr75
                                        ; implicit-def: $vgpr41
                                        ; implicit-def: $vgpr78
                                        ; implicit-def: $vgpr28
                                        ; implicit-def: $vgpr79
                                        ; implicit-def: $vgpr8
                                        ; implicit-def: $vgpr86
                                        ; implicit-def: $vgpr18
                                        ; implicit-def: $vgpr83
                                        ; implicit-def: $vgpr9
	s_xor_b64 exec, exec, s[6:7]
	s_cbranch_execz .LBB0_15
; %bb.12:
	s_add_u32 s0, s16, s14
	s_mov_b32 s14, 0x4104105
	v_mul_hi_u32 v7, v0, s14
	s_addc_u32 s1, s17, s15
	s_load_dwordx2 s[0:1], s[0:1], 0x0
	v_lshlrev_b64 v[5:6], 2, v[5:6]
	v_mul_u32_u24_e32 v7, 63, v7
	v_sub_u32_e32 v11, v0, v7
	v_mad_u64_u32 v[7:8], s[14:15], s2, v11, 0
	s_waitcnt lgkmcnt(0)
	v_mul_lo_u32 v14, s1, v3
	v_mul_lo_u32 v15, s0, v4
	v_mad_u64_u32 v[9:10], s[0:1], s0, v3, 0
	v_mov_b32_e32 v0, v8
	v_mad_u64_u32 v[12:13], s[0:1], s3, v11, v[0:1]
	v_add3_u32 v10, v10, v15, v14
	v_lshlrev_b64 v[9:10], 2, v[9:10]
	v_mov_b32_e32 v8, v12
	v_mov_b32_e32 v0, s9
	v_add_co_u32_e64 v12, s[0:1], s8, v9
	v_add_u32_e32 v14, 0x20d, v11
	v_addc_co_u32_e64 v13, s[0:1], v0, v10, s[0:1]
	v_mad_u64_u32 v[9:10], s[0:1], s2, v14, 0
	v_add_co_u32_e64 v0, s[0:1], v12, v5
	v_addc_co_u32_e64 v5, s[0:1], v13, v6, s[0:1]
	v_lshlrev_b64 v[6:7], 2, v[7:8]
	v_mov_b32_e32 v8, v10
	v_mad_u64_u32 v[12:13], s[0:1], s3, v14, v[8:9]
	v_add_u32_e32 v15, 0x41a, v11
	v_mad_u64_u32 v[13:14], s[0:1], s2, v15, 0
	v_add_co_u32_e64 v19, s[0:1], v0, v6
	v_mov_b32_e32 v10, v12
	v_addc_co_u32_e64 v20, s[0:1], v5, v7, s[0:1]
	v_lshlrev_b64 v[6:7], 2, v[9:10]
	v_mov_b32_e32 v8, v14
	v_add_u32_e32 v10, 63, v11
	v_mad_u64_u32 v[8:9], s[0:1], s3, v15, v[8:9]
	v_mad_u64_u32 v[15:16], s[0:1], s2, v10, 0
	v_add_co_u32_e64 v21, s[0:1], v0, v6
	v_mov_b32_e32 v14, v8
	v_mov_b32_e32 v8, v16
	v_addc_co_u32_e64 v22, s[0:1], v5, v7, s[0:1]
	v_mad_u64_u32 v[8:9], s[0:1], s3, v10, v[8:9]
	v_add_u32_e32 v9, 0x24c, v11
	v_lshlrev_b64 v[6:7], 2, v[13:14]
	v_mad_u64_u32 v[12:13], s[0:1], s2, v9, 0
	v_add_co_u32_e64 v23, s[0:1], v0, v6
	v_mov_b32_e32 v16, v8
	v_mov_b32_e32 v8, v13
	v_addc_co_u32_e64 v24, s[0:1], v5, v7, s[0:1]
	v_mad_u64_u32 v[8:9], s[0:1], s3, v9, v[8:9]
	v_add_u32_e32 v9, 0x459, v11
	v_lshlrev_b64 v[6:7], 2, v[15:16]
	v_mad_u64_u32 v[14:15], s[0:1], s2, v9, 0
	v_add_co_u32_e64 v25, s[0:1], v0, v6
	v_mov_b32_e32 v13, v8
	v_addc_co_u32_e64 v26, s[0:1], v5, v7, s[0:1]
	v_lshlrev_b64 v[6:7], 2, v[12:13]
	v_mov_b32_e32 v8, v15
	v_add_u32_e32 v13, 0x7e, v11
	v_mad_u64_u32 v[8:9], s[0:1], s3, v9, v[8:9]
	v_mad_u64_u32 v[16:17], s[0:1], s2, v13, 0
	v_add_co_u32_e64 v27, s[0:1], v0, v6
	v_mov_b32_e32 v15, v8
	v_mov_b32_e32 v8, v17
	v_addc_co_u32_e64 v28, s[0:1], v5, v7, s[0:1]
	v_mad_u64_u32 v[8:9], s[0:1], s3, v13, v[8:9]
	v_add_u32_e32 v9, 0x28b, v11
	v_lshlrev_b64 v[6:7], 2, v[14:15]
	v_mad_u64_u32 v[14:15], s[0:1], s2, v9, 0
	v_add_co_u32_e64 v29, s[0:1], v0, v6
	v_mov_b32_e32 v17, v8
	v_mov_b32_e32 v8, v15
	v_addc_co_u32_e64 v30, s[0:1], v5, v7, s[0:1]
	v_mad_u64_u32 v[8:9], s[0:1], s3, v9, v[8:9]
	v_lshlrev_b64 v[6:7], 2, v[16:17]
	v_add_u32_e32 v50, 0x555, v11
	v_add_co_u32_e64 v31, s[0:1], v0, v6
	v_mov_b32_e32 v15, v8
	v_add_u32_e32 v8, 0x498, v11
	v_addc_co_u32_e64 v32, s[0:1], v5, v7, s[0:1]
	v_mad_u64_u32 v[33:34], s[0:1], s2, v8, 0
	v_lshlrev_b64 v[6:7], 2, v[14:15]
	v_add_u32_e32 v14, 0xbd, v11
	v_add_co_u32_e64 v35, s[0:1], v0, v6
	v_mov_b32_e32 v6, v34
	v_addc_co_u32_e64 v36, s[0:1], v5, v7, s[0:1]
	v_mad_u64_u32 v[6:7], s[0:1], s3, v8, v[6:7]
	global_load_dword v7, v[19:20], off
	global_load_dword v16, v[21:22], off
	;; [unrolled: 1-line block ×8, first 2 shown]
	v_mad_u64_u32 v[37:38], s[0:1], s2, v14, 0
	v_mov_b32_e32 v34, v6
	v_add_u32_e32 v24, 0x2ca, v11
	v_mov_b32_e32 v6, v38
	v_lshlrev_b64 v[19:20], 2, v[33:34]
	v_add_u32_e32 v26, 0x4d7, v11
	s_waitcnt vmcnt(7)
	v_mad_u64_u32 v[21:22], s[0:1], s3, v14, v[6:7]
	v_mad_u64_u32 v[22:23], s[0:1], s2, v24, 0
	v_add_co_u32_e64 v29, s[0:1], v0, v19
	v_mov_b32_e32 v6, v23
	v_addc_co_u32_e64 v30, s[0:1], v5, v20, s[0:1]
	v_mad_u64_u32 v[23:24], s[0:1], s3, v24, v[6:7]
	v_mad_u64_u32 v[24:25], s[0:1], s2, v26, 0
	v_mov_b32_e32 v38, v21
	v_lshlrev_b64 v[19:20], 2, v[37:38]
	v_mov_b32_e32 v6, v25
	v_add_co_u32_e64 v31, s[0:1], v0, v19
	v_add_u32_e32 v19, 0xfc, v11
	v_addc_co_u32_e64 v32, s[0:1], v5, v20, s[0:1]
	v_lshlrev_b64 v[20:21], 2, v[22:23]
	v_mad_u64_u32 v[22:23], s[0:1], s3, v26, v[6:7]
	v_mad_u64_u32 v[26:27], s[0:1], s2, v19, 0
	v_add_co_u32_e64 v33, s[0:1], v0, v20
	v_mov_b32_e32 v25, v22
	v_mov_b32_e32 v6, v27
	v_addc_co_u32_e64 v34, s[0:1], v5, v21, s[0:1]
	v_lshlrev_b64 v[20:21], 2, v[24:25]
	v_mad_u64_u32 v[22:23], s[0:1], s3, v19, v[6:7]
	v_add_u32_e32 v25, 0x309, v11
	v_mad_u64_u32 v[23:24], s[0:1], s2, v25, 0
	v_add_co_u32_e64 v36, s[0:1], v0, v20
	v_mov_b32_e32 v27, v22
	v_mov_b32_e32 v6, v24
	v_addc_co_u32_e64 v37, s[0:1], v5, v21, s[0:1]
	v_lshlrev_b64 v[20:21], 2, v[26:27]
	v_mad_u64_u32 v[24:25], s[0:1], s3, v25, v[6:7]
	v_add_u32_e32 v27, 0x516, v11
	v_mad_u64_u32 v[25:26], s[0:1], s2, v27, 0
	v_add_co_u32_e64 v38, s[0:1], v0, v20
	v_mov_b32_e32 v6, v26
	v_add_u32_e32 v20, 0x13b, v11
	v_addc_co_u32_e64 v39, s[0:1], v5, v21, s[0:1]
	v_lshlrev_b64 v[21:22], 2, v[23:24]
	v_mad_u64_u32 v[23:24], s[0:1], s3, v27, v[6:7]
	v_mad_u64_u32 v[27:28], s[0:1], s2, v20, 0
	v_add_co_u32_e64 v21, s[0:1], v0, v21
	v_mov_b32_e32 v26, v23
	v_mov_b32_e32 v6, v28
	v_addc_co_u32_e64 v22, s[0:1], v5, v22, s[0:1]
	v_lshlrev_b64 v[23:24], 2, v[25:26]
	v_mad_u64_u32 v[25:26], s[0:1], s3, v20, v[6:7]
	v_add_co_u32_e64 v42, s[0:1], v0, v23
	v_mov_b32_e32 v28, v25
	v_add_u32_e32 v25, 0x348, v11
	v_addc_co_u32_e64 v43, s[0:1], v5, v24, s[0:1]
	v_lshlrev_b64 v[23:24], 2, v[27:28]
	v_mad_u64_u32 v[44:45], s[0:1], s2, v25, 0
	v_add_co_u32_e64 v46, s[0:1], v0, v23
	v_addc_co_u32_e64 v47, s[0:1], v5, v24, s[0:1]
	v_mad_u64_u32 v[48:49], s[0:1], s2, v50, 0
	v_mov_b32_e32 v6, v45
	v_mad_u64_u32 v[40:41], s[0:1], s3, v25, v[6:7]
	v_mov_b32_e32 v6, v49
	global_load_dword v24, v[29:30], off
	global_load_dword v35, v[31:32], off
	;; [unrolled: 1-line block ×8, first 2 shown]
	v_mad_u64_u32 v[31:32], s[0:1], s3, v50, v[6:7]
	v_add_u32_e32 v21, 0x17a, v11
	v_mov_b32_e32 v45, v40
	v_mad_u64_u32 v[32:33], s[0:1], s2, v21, 0
	v_lshlrev_b64 v[29:30], 2, v[44:45]
	v_add_u32_e32 v22, 0x387, v11
	v_add_co_u32_e64 v36, s[0:1], v0, v29
	v_addc_co_u32_e64 v37, s[0:1], v5, v30, s[0:1]
	v_mov_b32_e32 v6, v33
	v_mad_u64_u32 v[38:39], s[0:1], s2, v22, 0
	v_mov_b32_e32 v49, v31
	v_mad_u64_u32 v[33:34], s[0:1], s3, v21, v[6:7]
	v_lshlrev_b64 v[29:30], 2, v[48:49]
	v_mov_b32_e32 v6, v39
	v_add_co_u32_e64 v44, s[0:1], v0, v29
	v_addc_co_u32_e64 v45, s[0:1], v5, v30, s[0:1]
	v_lshlrev_b64 v[29:30], 2, v[32:33]
	v_mad_u64_u32 v[31:32], s[0:1], s3, v22, v[6:7]
	v_add_u32_e32 v22, 0x594, v11
	v_mad_u64_u32 v[32:33], s[0:1], s2, v22, 0
	v_add_co_u32_e64 v46, s[0:1], v0, v29
	v_mov_b32_e32 v6, v33
	v_addc_co_u32_e64 v47, s[0:1], v5, v30, s[0:1]
	v_mov_b32_e32 v39, v31
	v_mad_u64_u32 v[33:34], s[0:1], s3, v22, v[6:7]
	v_add_u32_e32 v22, 0x1b9, v11
	v_lshlrev_b64 v[29:30], 2, v[38:39]
	v_mad_u64_u32 v[38:39], s[0:1], s2, v22, 0
	v_add_co_u32_e64 v48, s[0:1], v0, v29
	v_mov_b32_e32 v6, v39
	v_addc_co_u32_e64 v49, s[0:1], v5, v30, s[0:1]
	v_lshlrev_b64 v[29:30], 2, v[32:33]
	v_mad_u64_u32 v[31:32], s[0:1], s3, v22, v[6:7]
	v_add_u32_e32 v34, 0x3c6, v11
	v_mad_u64_u32 v[32:33], s[0:1], s2, v34, 0
	v_add_co_u32_e64 v50, s[0:1], v0, v29
	v_mov_b32_e32 v39, v31
	v_add_u32_e32 v31, 0x5d3, v11
	v_addc_co_u32_e64 v51, s[0:1], v5, v30, s[0:1]
	v_lshlrev_b64 v[29:30], 2, v[38:39]
	v_mov_b32_e32 v6, v33
	v_mad_u64_u32 v[38:39], s[0:1], s2, v31, 0
	v_mad_u64_u32 v[33:34], s[0:1], s3, v34, v[6:7]
	v_add_co_u32_e64 v52, s[0:1], v0, v29
	v_mov_b32_e32 v6, v39
	v_addc_co_u32_e64 v53, s[0:1], v5, v30, s[0:1]
	v_lshlrev_b64 v[29:30], 2, v[32:33]
	v_mad_u64_u32 v[31:32], s[0:1], s3, v31, v[6:7]
	v_add_co_u32_e64 v54, s[0:1], v0, v29
	v_mov_b32_e32 v39, v31
	v_addc_co_u32_e64 v55, s[0:1], v5, v30, s[0:1]
	v_lshlrev_b64 v[29:30], 2, v[38:39]
                                        ; implicit-def: $vgpr40
	v_add_co_u32_e64 v38, s[0:1], v0, v29
	v_addc_co_u32_e64 v39, s[0:1], v5, v30, s[0:1]
	global_load_dword v30, v[36:37], off
	global_load_dword v34, v[44:45], off
	;; [unrolled: 1-line block ×8, first 2 shown]
	v_cmp_gt_u32_e64 s[0:1], 21, v11
                                        ; implicit-def: $vgpr44
                                        ; implicit-def: $vgpr38
                                        ; implicit-def: $vgpr37
                                        ; implicit-def: $vgpr36
                                        ; implicit-def: $vgpr39
	s_and_saveexec_b64 s[8:9], s[0:1]
	s_cbranch_execz .LBB0_14
; %bb.13:
	v_add_u32_e32 v40, 0x1f8, v11
	v_mad_u64_u32 v[36:37], s[0:1], s2, v40, 0
	v_add_u32_e32 v46, 0x405, v11
	v_mad_u64_u32 v[38:39], s[0:1], s2, v46, 0
	v_mov_b32_e32 v6, v37
	v_mad_u64_u32 v[44:45], s[0:1], s3, v40, v[6:7]
	v_mov_b32_e32 v6, v39
	v_mad_u64_u32 v[39:40], s[0:1], s3, v46, v[6:7]
	v_add_u32_e32 v40, 0x612, v11
	v_mov_b32_e32 v37, v44
	v_mad_u64_u32 v[44:45], s[0:1], s2, v40, 0
	v_lshlrev_b64 v[36:37], 2, v[36:37]
	v_add_co_u32_e64 v46, s[0:1], v0, v36
	v_mov_b32_e32 v6, v45
	v_addc_co_u32_e64 v47, s[0:1], v5, v37, s[0:1]
	v_lshlrev_b64 v[36:37], 2, v[38:39]
	v_mad_u64_u32 v[38:39], s[0:1], s3, v40, v[6:7]
	v_add_co_u32_e64 v39, s[0:1], v0, v36
	v_mov_b32_e32 v45, v38
	v_addc_co_u32_e64 v40, s[0:1], v5, v37, s[0:1]
	v_lshlrev_b64 v[36:37], 2, v[44:45]
	v_add_co_u32_e64 v48, s[0:1], v0, v36
	v_addc_co_u32_e64 v49, s[0:1], v5, v37, s[0:1]
	global_load_dword v44, v[46:47], off
	global_load_dword v36, v[39:40], off
	;; [unrolled: 1-line block ×3, first 2 shown]
	s_waitcnt vmcnt(2)
	v_lshrrev_b32_e32 v38, 16, v44
	s_waitcnt vmcnt(1)
	v_lshrrev_b32_e32 v39, 16, v36
	;; [unrolled: 2-line block ×3, first 2 shown]
.LBB0_14:
	s_or_b64 exec, exec, s[8:9]
	v_lshrrev_b32_e32 v48, 16, v7
	s_waitcnt vmcnt(22)
	v_lshrrev_b32_e32 v50, 16, v16
	s_waitcnt vmcnt(21)
	;; [unrolled: 2-line block ×23, first 2 shown]
	v_lshrrev_b32_e32 v66, 16, v31
.LBB0_15:
	s_or_b64 exec, exec, s[6:7]
	v_add_f16_e32 v5, v16, v17
	v_fma_f16 v5, v5, -0.5, v7
	v_sub_f16_e32 v6, v50, v54
	s_mov_b32 s0, 0xbaee
	s_movk_i32 s1, 0x3aee
	v_add_f16_e32 v0, v7, v16
	v_fma_f16 v7, v6, s0, v5
	v_fma_f16 v5, v6, s1, v5
	v_add_f16_e32 v6, v9, v15
	v_add_f16_e32 v45, v18, v6
	v_add_f16_e32 v6, v18, v15
	v_fma_f16 v6, v6, -0.5, v9
	v_sub_f16_e32 v9, v51, v86
	v_fma_f16 v46, v9, s0, v6
	v_fma_f16 v9, v9, s1, v6
	v_add_f16_e32 v6, v8, v12
	v_add_f16_e32 v47, v6, v24
	v_add_f16_e32 v6, v12, v24
	v_fma_f16 v6, v6, -0.5, v8
	v_sub_f16_e32 v8, v52, v55
	;; [unrolled: 7-line block ×8, first 2 shown]
	v_fma_f16 v35, v44, s0, v6
	v_fma_f16 v6, v44, s1, v6
	v_mul_u32_u24_e32 v44, 6, v11
	v_add_f16_e32 v0, v0, v17
	v_mad_u32_u24 v84, v11, 6, 0
	v_mad_i32_i24 v90, v10, 6, 0
	v_mad_i32_i24 v91, v13, 6, 0
	v_mad_i32_i24 v92, v14, 6, 0
	v_mad_i32_i24 v93, v19, 6, 0
	v_mad_i32_i24 v94, v20, 6, 0
	v_mad_i32_i24 v95, v21, 6, 0
	v_mad_i32_i24 v89, v22, 6, 0
	v_cmp_gt_u32_e64 s[0:1], 21, v11
	v_add_u32_e32 v96, 0, v44
	ds_write_b16 v84, v0
	ds_write_b16 v84, v7 offset:2
	ds_write_b16 v84, v5 offset:4
	ds_write_b16 v90, v45
	ds_write_b16 v90, v46 offset:2
	ds_write_b16 v90, v9 offset:4
	;; [unrolled: 3-line block ×8, first 2 shown]
	s_and_saveexec_b64 s[2:3], s[0:1]
	s_cbranch_execz .LBB0_17
; %bb.16:
	ds_write_b16 v96, v27 offset:3024
	ds_write_b16 v96, v35 offset:3026
	;; [unrolled: 1-line block ×3, first 2 shown]
.LBB0_17:
	s_or_b64 exec, exec, s[2:3]
	v_lshl_add_u32 v0, v11, 1, 0
	s_waitcnt lgkmcnt(0)
	; wave barrier
	s_waitcnt lgkmcnt(0)
	ds_read_u16 v46, v0
	ds_read_u16 v85, v0 offset:1050
	ds_read_u16 v82, v0 offset:1176
	;; [unrolled: 1-line block ×13, first 2 shown]
	v_lshlrev_b32_e32 v7, 2, v10
	v_lshlrev_b32_e32 v8, 2, v13
	;; [unrolled: 1-line block ×7, first 2 shown]
	v_sub_u32_e32 v49, v90, v7
	v_sub_u32_e32 v41, v91, v8
	;; [unrolled: 1-line block ×7, first 2 shown]
	ds_read_u16 v47, v41
	ds_read_u16 v45, v42
	;; [unrolled: 1-line block ×6, first 2 shown]
	ds_read_u16 v88, v0 offset:2100
	ds_read_u16 v68, v0 offset:1932
	ds_read_u16 v49, v49
	ds_read_u16 v65, v0 offset:2982
	s_and_saveexec_b64 s[2:3], s[0:1]
	s_cbranch_execz .LBB0_19
; %bb.18:
	ds_read_u16 v27, v0 offset:1008
	ds_read_u16 v35, v0 offset:2058
	;; [unrolled: 1-line block ×3, first 2 shown]
.LBB0_19:
	s_or_b64 exec, exec, s[2:3]
	v_sub_u32_e32 v99, 0, v97
	v_sub_u32_e32 v97, 0, v104
	v_add_f16_e32 v104, v48, v50
	v_add_f16_e32 v50, v50, v54
	v_fma_f16 v48, v50, -0.5, v48
	v_sub_f16_e32 v16, v16, v17
	s_movk_i32 s2, 0x3aee
	s_mov_b32 s3, 0xbaee
	v_add_f16_e32 v50, v86, v51
	v_fma_f16 v17, v16, s2, v48
	v_fma_f16 v16, v16, s3, v48
	v_add_f16_e32 v48, v83, v51
	v_fma_f16 v50, v50, -0.5, v83
	v_sub_f16_e32 v15, v15, v18
	v_add_f16_e32 v51, v52, v55
	v_fma_f16 v18, v15, s2, v50
	v_fma_f16 v15, v15, s3, v50
	v_add_f16_e32 v50, v79, v52
	v_fma_f16 v51, v51, -0.5, v79
	v_sub_f16_e32 v12, v12, v24
	v_add_f16_e32 v52, v78, v57
	v_fma_f16 v24, v12, s2, v51
	v_fma_f16 v12, v12, s3, v51
	v_add_f16_e32 v51, v78, v53
	v_fma_f16 v52, v52, -0.5, v53
	v_add_f16_e32 v53, v76, v59
	v_fma_f16 v53, v53, -0.5, v75
	v_sub_f16_e32 v23, v26, v23
	v_fma_f16 v26, v23, s2, v53
	v_fma_f16 v53, v23, s3, v53
	v_add_f16_e32 v23, v56, v61
	v_add_f16_e32 v104, v104, v54
	;; [unrolled: 1-line block ×4, first 2 shown]
	v_fma_f16 v23, v23, -0.5, v56
	v_sub_f16_e32 v30, v30, v34
	v_add_f16_e32 v50, v50, v55
	v_fma_f16 v55, v30, s2, v23
	v_fma_f16 v30, v30, s3, v23
	v_add_f16_e32 v23, v71, v58
	v_add_f16_e32 v56, v70, v23
	;; [unrolled: 1-line block ×3, first 2 shown]
	v_fma_f16 v23, v23, -0.5, v58
	v_sub_f16_e32 v32, v33, v32
	v_add_f16_e32 v51, v51, v57
	v_fma_f16 v57, v32, s2, v23
	v_fma_f16 v32, v32, s3, v23
	v_add_f16_e32 v23, v60, v63
	v_add_f16_e32 v58, v23, v66
	v_add_f16_e32 v23, v63, v66
	v_fma_f16 v23, v23, -0.5, v60
	v_sub_f16_e32 v29, v29, v31
	v_add_f16_e32 v33, v39, v40
	v_sub_f16_e32 v25, v28, v25
	v_fma_f16 v31, v29, s2, v23
	v_fma_f16 v29, v29, s3, v23
	v_add_f16_e32 v23, v39, v38
	v_fma_f16 v33, v33, -0.5, v38
	v_sub_f16_e32 v36, v36, v37
	v_sub_u32_e32 v103, 0, v7
	v_sub_u32_e32 v102, 0, v8
	;; [unrolled: 1-line block ×5, first 2 shown]
	v_fma_f16 v28, v25, s2, v52
	v_fma_f16 v25, v25, s3, v52
	v_add_f16_e32 v52, v76, v75
	v_add_f16_e32 v23, v40, v23
	v_fma_f16 v34, v36, s2, v33
	v_fma_f16 v33, v36, s3, v33
	v_add_u32_e32 v36, 0x1f8, v11
	v_add_f16_e32 v48, v86, v48
	v_add_f16_e32 v52, v52, v59
	s_waitcnt lgkmcnt(0)
	; wave barrier
	s_waitcnt lgkmcnt(0)
	ds_write_b16 v96, v104
	ds_write_b16 v96, v17 offset:2
	ds_write_b16 v96, v16 offset:4
	ds_write_b16 v90, v48
	ds_write_b16 v90, v18 offset:2
	ds_write_b16 v90, v15 offset:4
	ds_write_b16 v91, v50
	ds_write_b16 v91, v24 offset:2
	ds_write_b16 v91, v12 offset:4
	ds_write_b16 v92, v51
	ds_write_b16 v92, v28 offset:2
	ds_write_b16 v92, v25 offset:4
	ds_write_b16 v93, v52
	ds_write_b16 v93, v26 offset:2
	ds_write_b16 v93, v53 offset:4
	ds_write_b16 v94, v54
	ds_write_b16 v94, v55 offset:2
	ds_write_b16 v94, v30 offset:4
	ds_write_b16 v95, v56
	ds_write_b16 v95, v57 offset:2
	ds_write_b16 v95, v32 offset:4
	ds_write_b16 v89, v58
	ds_write_b16 v89, v31 offset:2
	ds_write_b16 v89, v29 offset:4
	s_and_saveexec_b64 s[2:3], s[0:1]
	s_cbranch_execz .LBB0_21
; %bb.20:
	v_mad_u32_u24 v12, v36, 6, 0
	ds_write_b16 v12, v23
	ds_write_b16 v12, v34 offset:2
	ds_write_b16 v12, v33 offset:4
.LBB0_21:
	s_or_b64 exec, exec, s[2:3]
	s_waitcnt lgkmcnt(0)
	; wave barrier
	s_waitcnt lgkmcnt(0)
	ds_read_u16 v30, v0
	ds_read_u16 v58, v0 offset:1050
	ds_read_u16 v56, v0 offset:1176
	;; [unrolled: 1-line block ×13, first 2 shown]
	v_add_u32_e32 v16, v91, v102
	v_add_u32_e32 v24, v95, v98
	;; [unrolled: 1-line block ×7, first 2 shown]
	ds_read_u16 v31, v16
	ds_read_u16 v29, v17
	;; [unrolled: 1-line block ×6, first 2 shown]
	ds_read_u16 v60, v0 offset:2100
	ds_read_u16 v40, v0 offset:1932
	ds_read_u16 v32, v15
	ds_read_u16 v39, v0 offset:2982
	s_and_saveexec_b64 s[2:3], s[0:1]
	s_cbranch_execz .LBB0_23
; %bb.22:
	ds_read_u16 v23, v0 offset:1008
	ds_read_u16 v34, v0 offset:2058
	;; [unrolled: 1-line block ×3, first 2 shown]
.LBB0_23:
	s_or_b64 exec, exec, s[2:3]
	s_movk_i32 s2, 0xab
	v_mul_lo_u16_sdwa v61, v11, s2 dst_sel:DWORD dst_unused:UNUSED_PAD src0_sel:BYTE_0 src1_sel:DWORD
	v_mul_lo_u16_sdwa v70, v10, s2 dst_sel:DWORD dst_unused:UNUSED_PAD src0_sel:BYTE_0 src1_sel:DWORD
	v_lshrrev_b16_e32 v79, 9, v61
	v_lshrrev_b16_e32 v83, 9, v70
	v_mul_lo_u16_e32 v61, 3, v79
	v_mul_lo_u16_e32 v70, 3, v83
	v_sub_u16_e32 v61, v11, v61
	v_mov_b32_e32 v63, 3
	v_sub_u16_e32 v70, v10, v70
	v_mul_lo_u16_sdwa v76, v13, s2 dst_sel:DWORD dst_unused:UNUSED_PAD src0_sel:BYTE_0 src1_sel:DWORD
	v_lshlrev_b32_sdwa v66, v63, v61 dst_sel:DWORD dst_unused:UNUSED_PAD src0_sel:DWORD src1_sel:BYTE_0
	v_lshlrev_b32_sdwa v71, v63, v70 dst_sel:DWORD dst_unused:UNUSED_PAD src0_sel:DWORD src1_sel:BYTE_0
	v_lshrrev_b16_e32 v86, 9, v76
	global_load_dwordx2 v[74:75], v66, s[12:13]
	global_load_dwordx2 v[89:90], v71, s[12:13]
	v_mul_lo_u16_e32 v66, 3, v86
	v_sub_u16_e32 v66, v13, v66
	v_mul_lo_u16_sdwa v76, v14, s2 dst_sel:DWORD dst_unused:UNUSED_PAD src0_sel:BYTE_0 src1_sel:DWORD
	v_lshlrev_b32_sdwa v71, v63, v66 dst_sel:DWORD dst_unused:UNUSED_PAD src0_sel:DWORD src1_sel:BYTE_0
	v_lshrrev_b16_e32 v105, 9, v76
	global_load_dwordx2 v[91:92], v71, s[12:13]
	v_mul_lo_u16_e32 v71, 3, v105
	v_sub_u16_e32 v71, v14, v71
	v_lshlrev_b32_sdwa v63, v63, v71 dst_sel:DWORD dst_unused:UNUSED_PAD src0_sel:DWORD src1_sel:BYTE_0
	s_mov_b32 s2, 0xaaab
	global_load_dwordx2 v[93:94], v63, s[12:13]
	v_mul_u32_u24_sdwa v63, v19, s2 dst_sel:DWORD dst_unused:UNUSED_PAD src0_sel:WORD_0 src1_sel:DWORD
	v_lshrrev_b32_e32 v106, 17, v63
	v_mul_lo_u16_e32 v63, 3, v106
	v_sub_u16_e32 v107, v19, v63
	v_lshlrev_b32_e32 v63, 3, v107
	global_load_dwordx2 v[95:96], v63, s[12:13]
	v_mul_u32_u24_sdwa v63, v20, s2 dst_sel:DWORD dst_unused:UNUSED_PAD src0_sel:WORD_0 src1_sel:DWORD
	v_lshrrev_b32_e32 v108, 17, v63
	v_mul_lo_u16_e32 v63, 3, v108
	v_sub_u16_e32 v20, v20, v63
	v_lshlrev_b32_e32 v63, 3, v20
	;; [unrolled: 6-line block ×5, first 2 shown]
	global_load_dwordx2 v[103:104], v21, s[12:13]
	v_mov_b32_e32 v21, 1
	v_lshlrev_b32_sdwa v115, v21, v61 dst_sel:DWORD dst_unused:UNUSED_PAD src0_sel:DWORD src1_sel:BYTE_0
	v_lshlrev_b32_sdwa v116, v21, v70 dst_sel:DWORD dst_unused:UNUSED_PAD src0_sel:DWORD src1_sel:BYTE_0
	;; [unrolled: 1-line block ×4, first 2 shown]
	s_mov_b32 s6, 0xbaee
	s_movk_i32 s7, 0x3aee
	s_waitcnt lgkmcnt(0)
	; wave barrier
	s_waitcnt vmcnt(8) lgkmcnt(0)
	v_mul_f16_sdwa v22, v85, v74 dst_sel:DWORD dst_unused:UNUSED_PAD src0_sel:DWORD src1_sel:WORD_1
	v_fma_f16 v76, v58, v74, -v22
	v_mul_f16_sdwa v21, v58, v74 dst_sel:DWORD dst_unused:UNUSED_PAD src0_sel:DWORD src1_sel:WORD_1
	v_mul_f16_sdwa v36, v60, v75 dst_sel:DWORD dst_unused:UNUSED_PAD src0_sel:DWORD src1_sel:WORD_1
	;; [unrolled: 1-line block ×3, first 2 shown]
	s_waitcnt vmcnt(7)
	v_mul_f16_sdwa v120, v87, v90 dst_sel:DWORD dst_unused:UNUSED_PAD src0_sel:DWORD src1_sel:WORD_1
	v_mul_f16_sdwa v63, v56, v89 dst_sel:DWORD dst_unused:UNUSED_PAD src0_sel:DWORD src1_sel:WORD_1
	s_waitcnt vmcnt(6)
	v_mul_f16_sdwa v122, v81, v91 dst_sel:DWORD dst_unused:UNUSED_PAD src0_sel:DWORD src1_sel:WORD_1
	v_mul_f16_sdwa v119, v59, v90 dst_sel:DWORD dst_unused:UNUSED_PAD src0_sel:DWORD src1_sel:WORD_1
	;; [unrolled: 1-line block ×3, first 2 shown]
	v_fma_f16 v70, v85, v74, v21
	v_fma_f16 v74, v88, v75, v36
	s_waitcnt vmcnt(5)
	v_mul_f16_sdwa v22, v77, v93 dst_sel:DWORD dst_unused:UNUSED_PAD src0_sel:DWORD src1_sel:WORD_1
	v_mul_f16_sdwa v125, v53, v93 dst_sel:DWORD dst_unused:UNUSED_PAD src0_sel:DWORD src1_sel:WORD_1
	v_fma_f16 v53, v53, v93, -v22
	v_mul_f16_sdwa v22, v54, v94 dst_sel:DWORD dst_unused:UNUSED_PAD src0_sel:DWORD src1_sel:WORD_1
	v_fma_f16 v78, v60, v75, -v61
	v_fma_f16 v75, v59, v90, -v120
	;; [unrolled: 1-line block ×3, first 2 shown]
	v_fma_f16 v55, v80, v94, v22
	v_mul_f16_sdwa v22, v80, v94 dst_sel:DWORD dst_unused:UNUSED_PAD src0_sel:DWORD src1_sel:WORD_1
	v_fma_f16 v58, v82, v89, v63
	v_fma_f16 v63, v54, v94, -v22
	s_waitcnt vmcnt(4)
	v_mul_f16_sdwa v54, v72, v95 dst_sel:DWORD dst_unused:UNUSED_PAD src0_sel:DWORD src1_sel:WORD_1
	v_mul_f16_sdwa v124, v84, v92 dst_sel:DWORD dst_unused:UNUSED_PAD src0_sel:DWORD src1_sel:WORD_1
	;; [unrolled: 1-line block ×3, first 2 shown]
	v_fma_f16 v54, v51, v95, -v54
	v_mul_f16_sdwa v51, v52, v96 dst_sel:DWORD dst_unused:UNUSED_PAD src0_sel:DWORD src1_sel:WORD_1
	v_mul_f16_sdwa v66, v82, v89 dst_sel:DWORD dst_unused:UNUSED_PAD src0_sel:DWORD src1_sel:WORD_1
	;; [unrolled: 1-line block ×3, first 2 shown]
	v_fma_f16 v61, v57, v92, -v124
	v_fma_f16 v57, v73, v96, v51
	v_mul_f16_sdwa v51, v73, v96 dst_sel:DWORD dst_unused:UNUSED_PAD src0_sel:DWORD src1_sel:WORD_1
	v_lshlrev_b32_e32 v82, 1, v20
	s_waitcnt vmcnt(3)
	v_mul_f16_sdwa v20, v48, v97 dst_sel:DWORD dst_unused:UNUSED_PAD src0_sel:DWORD src1_sel:WORD_1
	v_fma_f16 v22, v72, v95, v22
	v_fma_f16 v72, v52, v96, -v51
	v_fma_f16 v51, v67, v97, v20
	v_mul_f16_sdwa v20, v67, v97 dst_sel:DWORD dst_unused:UNUSED_PAD src0_sel:DWORD src1_sel:WORD_1
	v_fma_f16 v52, v48, v97, -v20
	v_mul_f16_sdwa v20, v50, v98 dst_sel:DWORD dst_unused:UNUSED_PAD src0_sel:DWORD src1_sel:WORD_1
	v_fma_f16 v71, v56, v89, -v66
	v_fma_f16 v66, v69, v98, v20
	v_mul_f16_sdwa v20, v69, v98 dst_sel:DWORD dst_unused:UNUSED_PAD src0_sel:DWORD src1_sel:WORD_1
	v_fma_f16 v69, v50, v98, -v20
	s_waitcnt vmcnt(2)
	v_mul_f16_sdwa v20, v37, v99 dst_sel:DWORD dst_unused:UNUSED_PAD src0_sel:DWORD src1_sel:WORD_1
	v_fma_f16 v50, v62, v99, v20
	v_mul_f16_sdwa v20, v62, v99 dst_sel:DWORD dst_unused:UNUSED_PAD src0_sel:DWORD src1_sel:WORD_1
	v_fma_f16 v62, v37, v99, -v20
	v_mul_f16_sdwa v20, v38, v100 dst_sel:DWORD dst_unused:UNUSED_PAD src0_sel:DWORD src1_sel:WORD_1
	v_fma_f16 v67, v64, v100, v20
	v_mul_f16_sdwa v20, v64, v100 dst_sel:DWORD dst_unused:UNUSED_PAD src0_sel:DWORD src1_sel:WORD_1
	v_fma_f16 v73, v38, v100, -v20
	s_waitcnt vmcnt(1)
	v_mul_f16_sdwa v20, v40, v101 dst_sel:DWORD dst_unused:UNUSED_PAD src0_sel:DWORD src1_sel:WORD_1
	v_fma_f16 v37, v68, v101, v20
	v_mul_f16_sdwa v20, v68, v101 dst_sel:DWORD dst_unused:UNUSED_PAD src0_sel:DWORD src1_sel:WORD_1
	v_fma_f16 v40, v40, v101, -v20
	v_mul_f16_sdwa v20, v39, v102 dst_sel:DWORD dst_unused:UNUSED_PAD src0_sel:DWORD src1_sel:WORD_1
	;; [unrolled: 9-line block ×3, first 2 shown]
	v_fma_f16 v34, v6, v104, v20
	v_mul_f16_sdwa v6, v6, v104 dst_sel:DWORD dst_unused:UNUSED_PAD src0_sel:DWORD src1_sel:WORD_1
	v_fma_f16 v48, v33, v104, -v6
	v_add_f16_e32 v6, v46, v70
	v_add_f16_e32 v33, v6, v74
	;; [unrolled: 1-line block ×3, first 2 shown]
	v_fma_f16 v6, v6, -0.5, v46
	v_sub_f16_e32 v20, v76, v78
	v_fma_f16 v60, v87, v90, v119
	v_fma_f16 v35, v20, s6, v6
	;; [unrolled: 1-line block ×3, first 2 shown]
	v_add_f16_e32 v6, v49, v58
	v_add_f16_e32 v80, v6, v60
	;; [unrolled: 1-line block ×3, first 2 shown]
	v_fma_f16 v36, v81, v91, v121
	v_fma_f16 v6, v6, -0.5, v49
	v_sub_f16_e32 v20, v71, v75
	v_fma_f16 v56, v84, v92, v123
	v_fma_f16 v49, v20, s6, v6
	;; [unrolled: 1-line block ×3, first 2 shown]
	v_add_f16_e32 v6, v47, v36
	v_add_f16_e32 v88, v6, v56
	;; [unrolled: 1-line block ×3, first 2 shown]
	v_fma_f16 v21, v77, v93, v125
	v_fma_f16 v6, v6, -0.5, v47
	v_sub_f16_e32 v20, v59, v61
	v_fma_f16 v47, v20, s6, v6
	v_fma_f16 v89, v20, s7, v6
	v_add_f16_e32 v6, v45, v21
	v_add_f16_e32 v90, v6, v55
	v_add_f16_e32 v6, v21, v55
	v_fma_f16 v6, v6, -0.5, v45
	v_sub_f16_e32 v20, v53, v63
	v_fma_f16 v45, v20, s6, v6
	v_fma_f16 v91, v20, s7, v6
	v_add_f16_e32 v6, v44, v22
	v_add_f16_e32 v92, v6, v57
	v_add_f16_e32 v6, v22, v57
	;; [unrolled: 7-line block ×5, first 2 shown]
	v_fma_f16 v6, v6, -0.5, v41
	v_sub_f16_e32 v20, v40, v65
	v_fma_f16 v41, v20, s6, v6
	v_fma_f16 v99, v20, s7, v6
	v_add_f16_e32 v6, v38, v34
	v_fma_f16 v6, v6, -0.5, v27
	v_sub_f16_e32 v68, v39, v48
	v_fma_f16 v20, v68, s6, v6
	v_fma_f16 v6, v68, s7, v6
	v_mul_u32_u24_e32 v68, 18, v79
	v_add3_u32 v68, 0, v68, v115
	ds_write_b16 v68, v33
	ds_write_b16 v68, v35 offset:6
	ds_write_b16 v68, v46 offset:12
	v_mul_u32_u24_e32 v33, 18, v83
	v_add3_u32 v77, 0, v33, v116
	v_mul_u32_u24_e32 v33, 18, v86
	v_add3_u32 v79, 0, v33, v117
	v_mul_u32_u24_e32 v33, 18, v105
	v_lshlrev_b32_e32 v81, 1, v107
	ds_write_b16 v77, v80
	ds_write_b16 v77, v49 offset:6
	ds_write_b16 v77, v84 offset:12
	v_add3_u32 v80, 0, v33, v118
	v_mul_u32_u24_e32 v33, 18, v106
	v_add3_u32 v81, 0, v33, v81
	v_mul_u32_u24_e32 v33, 18, v108
	v_lshlrev_b32_e32 v85, 1, v110
	v_add3_u32 v84, 0, v33, v82
	v_mul_u32_u24_e32 v33, 18, v109
	v_lshlrev_b32_e32 v87, 1, v112
	v_add3_u32 v85, 0, v33, v85
	v_mul_u32_u24_e32 v33, 18, v111
	v_add3_u32 v86, 0, v33, v87
	v_mul_lo_u16_e32 v82, 9, v113
	v_lshlrev_b32_e32 v83, 1, v114
	ds_write_b16 v79, v88
	ds_write_b16 v79, v47 offset:6
	ds_write_b16 v79, v89 offset:12
	ds_write_b16 v80, v90
	ds_write_b16 v80, v45 offset:6
	ds_write_b16 v80, v91 offset:12
	;; [unrolled: 3-line block ×6, first 2 shown]
	s_and_saveexec_b64 s[2:3], s[0:1]
	s_cbranch_execz .LBB0_25
; %bb.24:
	v_add_f16_e32 v27, v27, v38
	v_lshlrev_b32_e32 v33, 1, v82
	v_add_f16_e32 v27, v27, v34
	v_add3_u32 v33, 0, v83, v33
	ds_write_b16 v33, v27
	ds_write_b16 v33, v20 offset:6
	ds_write_b16 v33, v6 offset:12
.LBB0_25:
	s_or_b64 exec, exec, s[2:3]
	v_add_f16_e32 v27, v30, v76
	v_add_f16_e32 v87, v27, v78
	v_add_f16_e32 v27, v76, v78
	v_fma_f16 v27, v27, -0.5, v30
	v_sub_f16_e32 v30, v70, v74
	v_fma_f16 v70, v30, s7, v27
	v_fma_f16 v74, v30, s6, v27
	v_add_f16_e32 v27, v32, v71
	v_add_f16_e32 v76, v27, v75
	v_add_f16_e32 v27, v71, v75
	v_fma_f16 v27, v27, -0.5, v32
	v_sub_f16_e32 v30, v58, v60
	v_fma_f16 v58, v30, s7, v27
	v_fma_f16 v60, v30, s6, v27
	;; [unrolled: 7-line block ×8, first 2 shown]
	v_add_f16_e32 v21, v39, v48
	v_fma_f16 v21, v21, -0.5, v23
	v_sub_f16_e32 v26, v38, v34
	v_fma_f16 v22, v26, s7, v21
	v_fma_f16 v21, v26, s6, v21
	s_waitcnt lgkmcnt(0)
	; wave barrier
	s_waitcnt lgkmcnt(0)
	ds_read_u16 v46, v12
	ds_read_u16 v45, v0 offset:1386
	ds_read_u16 v41, v0 offset:1512
	ds_read_u16 v30, v0
	ds_read_u16 v47, v0 offset:756
	ds_read_u16 v44, v0 offset:882
	;; [unrolled: 1-line block ×10, first 2 shown]
	ds_read_u16 v28, v16
	ds_read_u16 v26, v17
	;; [unrolled: 1-line block ×3, first 2 shown]
	ds_read_u16 v53, v0 offset:1260
	ds_read_u16 v36, v0 offset:1134
	;; [unrolled: 1-line block ×6, first 2 shown]
	ds_read_u16 v29, v15
	ds_read_u16 v34, v0 offset:3024
	s_waitcnt lgkmcnt(0)
	; wave barrier
	s_waitcnt lgkmcnt(0)
	ds_write_b16 v68, v87
	ds_write_b16 v68, v70 offset:6
	ds_write_b16 v68, v74 offset:12
	ds_write_b16 v77, v76
	ds_write_b16 v77, v58 offset:6
	ds_write_b16 v77, v60 offset:12
	;; [unrolled: 3-line block ×8, first 2 shown]
	s_and_saveexec_b64 s[2:3], s[0:1]
	s_cbranch_execz .LBB0_27
; %bb.26:
	v_add_f16_e32 v23, v23, v39
	v_lshlrev_b32_e32 v24, 1, v82
	v_add_f16_e32 v23, v23, v48
	v_add3_u32 v24, 0, v83, v24
	ds_write_b16 v24, v23
	ds_write_b16 v24, v22 offset:6
	ds_write_b16 v24, v21 offset:12
.LBB0_27:
	s_or_b64 exec, exec, s[2:3]
	v_mov_b32_e32 v23, 57
	v_mul_lo_u16_sdwa v24, v11, v23 dst_sel:DWORD dst_unused:UNUSED_PAD src0_sel:BYTE_0 src1_sel:DWORD
	v_lshrrev_b16_e32 v39, 9, v24
	v_mul_lo_u16_e32 v24, 9, v39
	v_sub_u16_e32 v48, v11, v24
	v_mov_b32_e32 v24, 4
	v_lshlrev_b32_sdwa v25, v24, v48 dst_sel:DWORD dst_unused:UNUSED_PAD src0_sel:DWORD src1_sel:BYTE_0
	s_waitcnt lgkmcnt(0)
	; wave barrier
	s_waitcnt lgkmcnt(0)
	global_load_dwordx4 v[55:58], v25, s[12:13] offset:24
	v_mul_lo_u16_sdwa v25, v10, v23 dst_sel:DWORD dst_unused:UNUSED_PAD src0_sel:BYTE_0 src1_sel:DWORD
	v_lshrrev_b16_e32 v101, 9, v25
	v_mul_lo_u16_e32 v25, 9, v101
	v_sub_u16_e32 v102, v10, v25
	v_lshlrev_b32_sdwa v25, v24, v102 dst_sel:DWORD dst_unused:UNUSED_PAD src0_sel:DWORD src1_sel:BYTE_0
	global_load_dwordx4 v[61:64], v25, s[12:13] offset:24
	v_mul_lo_u16_sdwa v25, v13, v23 dst_sel:DWORD dst_unused:UNUSED_PAD src0_sel:BYTE_0 src1_sel:DWORD
	v_lshrrev_b16_e32 v103, 9, v25
	v_mul_lo_u16_e32 v25, 9, v103
	v_sub_u16_e32 v104, v13, v25
	v_lshlrev_b32_sdwa v25, v24, v104 dst_sel:DWORD dst_unused:UNUSED_PAD src0_sel:DWORD src1_sel:BYTE_0
	;; [unrolled: 6-line block ×3, first 2 shown]
	global_load_dwordx4 v[93:96], v24, s[12:13] offset:24
	s_mov_b32 s0, 0xe38f
	v_mul_u32_u24_sdwa v24, v19, s0 dst_sel:DWORD dst_unused:UNUSED_PAD src0_sel:WORD_0 src1_sel:DWORD
	v_lshrrev_b32_e32 v108, 19, v24
	v_mul_lo_u16_e32 v24, 9, v108
	v_sub_u16_e32 v109, v19, v24
	v_lshlrev_b32_e32 v19, 4, v109
	ds_read_u16 v59, v12
	ds_read_u16 v65, v0 offset:1386
	ds_read_u16 v66, v0 offset:1512
	ds_read_u16 v52, v0
	ds_read_u16 v71, v0 offset:756
	ds_read_u16 v73, v0 offset:882
	;; [unrolled: 1-line block ×4, first 2 shown]
	global_load_dwordx4 v[97:100], v19, s[12:13] offset:24
	ds_read_u16 v19, v0 offset:2016
	ds_read_u16 v80, v0 offset:2142
	ds_read_u16 v110, v0 offset:2268
	ds_read_u16 v72, v0 offset:2646
	ds_read_u16 v111, v0 offset:2772
	ds_read_u16 v112, v0 offset:2898
	ds_read_u16 v31, v16
	ds_read_u16 v24, v17
	;; [unrolled: 1-line block ×3, first 2 shown]
	ds_read_u16 v74, v0 offset:1260
	ds_read_u16 v113, v0 offset:1134
	;; [unrolled: 1-line block ×6, first 2 shown]
	ds_read_u16 v60, v15
	ds_read_u16 v116, v0 offset:3024
	s_mov_b32 s7, 0xbb9c
	s_movk_i32 s9, 0x3b9c
	s_mov_b32 s6, 0xb8b4
	s_movk_i32 s14, 0x38b4
	s_movk_i32 s8, 0x34f2
	s_waitcnt lgkmcnt(0)
	; wave barrier
	s_waitcnt lgkmcnt(0)
	v_mul_u32_u24_e32 v23, 0x5a, v23
	v_cmp_gt_u32_e64 s[0:1], 36, v11
	s_waitcnt vmcnt(4)
	v_mul_f16_sdwa v77, v59, v55 dst_sel:DWORD dst_unused:UNUSED_PAD src0_sel:DWORD src1_sel:WORD_1
	v_mul_f16_sdwa v85, v75, v58 dst_sel:DWORD dst_unused:UNUSED_PAD src0_sel:DWORD src1_sel:WORD_1
	v_fma_f16 v89, v46, v55, v77
	v_mul_f16_sdwa v79, v74, v56 dst_sel:DWORD dst_unused:UNUSED_PAD src0_sel:DWORD src1_sel:WORD_1
	v_fma_f16 v92, v51, v58, v85
	v_fma_f16 v90, v53, v56, v79
	s_waitcnt vmcnt(3)
	v_mul_f16_sdwa v122, v50, v63 dst_sel:DWORD dst_unused:UNUSED_PAD src0_sel:DWORD src1_sel:WORD_1
	v_mul_f16_sdwa v121, v19, v63 dst_sel:DWORD dst_unused:UNUSED_PAD src0_sel:DWORD src1_sel:WORD_1
	v_fma_f16 v77, v19, v63, -v122
	v_mul_f16_sdwa v19, v72, v64 dst_sel:DWORD dst_unused:UNUSED_PAD src0_sel:DWORD src1_sel:WORD_1
	v_fma_f16 v85, v49, v64, v19
	v_mul_f16_sdwa v19, v49, v64 dst_sel:DWORD dst_unused:UNUSED_PAD src0_sel:DWORD src1_sel:WORD_1
	v_fma_f16 v79, v72, v64, -v19
	s_waitcnt vmcnt(2)
	v_mul_f16_sdwa v19, v73, v67 dst_sel:DWORD dst_unused:UNUSED_PAD src0_sel:DWORD src1_sel:WORD_1
	v_fma_f16 v72, v44, v67, v19
	v_mul_f16_sdwa v19, v44, v67 dst_sel:DWORD dst_unused:UNUSED_PAD src0_sel:DWORD src1_sel:WORD_1
	v_mul_f16_sdwa v81, v53, v56 dst_sel:DWORD dst_unused:UNUSED_PAD src0_sel:DWORD src1_sel:WORD_1
	v_fma_f16 v64, v73, v67, -v19
	v_mul_f16_sdwa v19, v66, v68 dst_sel:DWORD dst_unused:UNUSED_PAD src0_sel:DWORD src1_sel:WORD_1
	v_fma_f16 v86, v74, v56, -v81
	v_fma_f16 v74, v41, v68, v19
	v_mul_f16_sdwa v19, v41, v68 dst_sel:DWORD dst_unused:UNUSED_PAD src0_sel:DWORD src1_sel:WORD_1
	v_mul_f16_sdwa v78, v46, v55 dst_sel:DWORD dst_unused:UNUSED_PAD src0_sel:DWORD src1_sel:WORD_1
	v_fma_f16 v68, v66, v68, -v19
	v_mul_f16_sdwa v19, v80, v69 dst_sel:DWORD dst_unused:UNUSED_PAD src0_sel:DWORD src1_sel:WORD_1
	v_fma_f16 v84, v59, v55, -v78
	v_fma_f16 v78, v43, v69, v19
	v_mul_f16_sdwa v19, v43, v69 dst_sel:DWORD dst_unused:UNUSED_PAD src0_sel:DWORD src1_sel:WORD_1
	v_fma_f16 v69, v80, v69, -v19
	v_mul_f16_sdwa v19, v111, v70 dst_sel:DWORD dst_unused:UNUSED_PAD src0_sel:DWORD src1_sel:WORD_1
	v_mul_f16_sdwa v88, v51, v58 dst_sel:DWORD dst_unused:UNUSED_PAD src0_sel:DWORD src1_sel:WORD_1
	;; [unrolled: 1-line block ×3, first 2 shown]
	v_fma_f16 v80, v42, v70, v19
	v_mul_f16_sdwa v19, v42, v70 dst_sel:DWORD dst_unused:UNUSED_PAD src0_sel:DWORD src1_sel:WORD_1
	v_mul_f16_sdwa v83, v54, v57 dst_sel:DWORD dst_unused:UNUSED_PAD src0_sel:DWORD src1_sel:WORD_1
	;; [unrolled: 1-line block ×4, first 2 shown]
	v_fma_f16 v88, v75, v58, -v88
	v_fma_f16 v75, v71, v61, -v118
	;; [unrolled: 1-line block ×3, first 2 shown]
	s_waitcnt vmcnt(1)
	v_mul_f16_sdwa v19, v106, v93 dst_sel:DWORD dst_unused:UNUSED_PAD src0_sel:DWORD src1_sel:WORD_1
	v_mul_f16_sdwa v82, v76, v57 dst_sel:DWORD dst_unused:UNUSED_PAD src0_sel:DWORD src1_sel:WORD_1
	v_mul_f16_sdwa v119, v65, v62 dst_sel:DWORD dst_unused:UNUSED_PAD src0_sel:DWORD src1_sel:WORD_1
	v_fma_f16 v87, v76, v57, -v83
	v_fma_f16 v76, v65, v62, -v120
	v_fma_f16 v65, v40, v93, v19
	v_mul_f16_sdwa v19, v40, v93 dst_sel:DWORD dst_unused:UNUSED_PAD src0_sel:DWORD src1_sel:WORD_1
	v_fma_f16 v56, v106, v93, -v19
	v_mul_f16_sdwa v19, v107, v94 dst_sel:DWORD dst_unused:UNUSED_PAD src0_sel:DWORD src1_sel:WORD_1
	v_fma_f16 v67, v37, v94, v19
	v_mul_f16_sdwa v19, v37, v94 dst_sel:DWORD dst_unused:UNUSED_PAD src0_sel:DWORD src1_sel:WORD_1
	v_fma_f16 v59, v107, v94, -v19
	v_mul_f16_sdwa v19, v110, v95 dst_sel:DWORD dst_unused:UNUSED_PAD src0_sel:DWORD src1_sel:WORD_1
	v_fma_f16 v70, v35, v95, v19
	v_mul_f16_sdwa v19, v35, v95 dst_sel:DWORD dst_unused:UNUSED_PAD src0_sel:DWORD src1_sel:WORD_1
	v_fma_f16 v81, v47, v61, v117
	v_fma_f16 v61, v110, v95, -v19
	v_mul_f16_sdwa v19, v112, v96 dst_sel:DWORD dst_unused:UNUSED_PAD src0_sel:DWORD src1_sel:WORD_1
	v_fma_f16 v73, v32, v96, v19
	v_mul_f16_sdwa v19, v32, v96 dst_sel:DWORD dst_unused:UNUSED_PAD src0_sel:DWORD src1_sel:WORD_1
	v_fma_f16 v83, v50, v63, v121
	v_fma_f16 v63, v112, v96, -v19
	s_waitcnt vmcnt(0)
	v_mul_f16_sdwa v19, v113, v97 dst_sel:DWORD dst_unused:UNUSED_PAD src0_sel:DWORD src1_sel:WORD_1
	v_fma_f16 v91, v54, v57, v82
	v_fma_f16 v57, v36, v97, v19
	v_mul_f16_sdwa v19, v36, v97 dst_sel:DWORD dst_unused:UNUSED_PAD src0_sel:DWORD src1_sel:WORD_1
	v_fma_f16 v32, v113, v97, -v19
	v_mul_f16_sdwa v19, v115, v98 dst_sel:DWORD dst_unused:UNUSED_PAD src0_sel:DWORD src1_sel:WORD_1
	v_fma_f16 v58, v38, v98, v19
	v_mul_f16_sdwa v19, v38, v98 dst_sel:DWORD dst_unused:UNUSED_PAD src0_sel:DWORD src1_sel:WORD_1
	v_fma_f16 v53, v115, v98, -v19
	v_mul_f16_sdwa v19, v114, v99 dst_sel:DWORD dst_unused:UNUSED_PAD src0_sel:DWORD src1_sel:WORD_1
	v_fma_f16 v82, v45, v62, v119
	v_fma_f16 v62, v33, v99, v19
	v_mul_f16_sdwa v19, v33, v99 dst_sel:DWORD dst_unused:UNUSED_PAD src0_sel:DWORD src1_sel:WORD_1
	v_fma_f16 v54, v114, v99, -v19
	v_mul_f16_sdwa v19, v116, v100 dst_sel:DWORD dst_unused:UNUSED_PAD src0_sel:DWORD src1_sel:WORD_1
	v_fma_f16 v66, v34, v100, v19
	v_mul_f16_sdwa v19, v34, v100 dst_sel:DWORD dst_unused:UNUSED_PAD src0_sel:DWORD src1_sel:WORD_1
	v_fma_f16 v55, v116, v100, -v19
	v_add_f16_e32 v19, v30, v89
	v_add_f16_e32 v19, v19, v90
	;; [unrolled: 1-line block ×5, first 2 shown]
	v_fma_f16 v19, v19, -0.5, v30
	v_sub_f16_e32 v34, v84, v88
	v_fma_f16 v35, v34, s7, v19
	v_sub_f16_e32 v36, v86, v87
	v_sub_f16_e32 v37, v89, v90
	;; [unrolled: 1-line block ×3, first 2 shown]
	v_fma_f16 v19, v34, s9, v19
	v_fma_f16 v35, v36, s6, v35
	v_add_f16_e32 v37, v37, v38
	v_fma_f16 v19, v36, s14, v19
	v_fma_f16 v35, v37, s8, v35
	;; [unrolled: 1-line block ×3, first 2 shown]
	v_add_f16_e32 v19, v89, v92
	v_fma_f16 v19, v19, -0.5, v30
	v_fma_f16 v30, v36, s9, v19
	v_sub_f16_e32 v38, v90, v89
	v_sub_f16_e32 v40, v91, v92
	v_fma_f16 v19, v36, s7, v19
	v_add_f16_e32 v38, v38, v40
	v_fma_f16 v19, v34, s14, v19
	v_fma_f16 v30, v34, s6, v30
	;; [unrolled: 1-line block ×3, first 2 shown]
	v_add_f16_e32 v19, v29, v81
	v_add_f16_e32 v19, v19, v82
	;; [unrolled: 1-line block ×5, first 2 shown]
	v_fma_f16 v30, v38, s8, v30
	v_fma_f16 v19, v19, -0.5, v29
	v_sub_f16_e32 v38, v75, v79
	v_fma_f16 v40, v38, s7, v19
	v_sub_f16_e32 v41, v76, v77
	v_sub_f16_e32 v42, v81, v82
	;; [unrolled: 1-line block ×3, first 2 shown]
	v_fma_f16 v19, v38, s9, v19
	v_fma_f16 v40, v41, s6, v40
	v_add_f16_e32 v42, v42, v43
	v_fma_f16 v19, v41, s14, v19
	v_fma_f16 v40, v42, s8, v40
	;; [unrolled: 1-line block ×3, first 2 shown]
	v_add_f16_e32 v19, v81, v85
	v_fma_f16 v19, v19, -0.5, v29
	v_fma_f16 v29, v41, s9, v19
	v_sub_f16_e32 v43, v82, v81
	v_sub_f16_e32 v44, v83, v85
	v_fma_f16 v19, v41, s7, v19
	v_add_f16_e32 v43, v43, v44
	v_fma_f16 v19, v38, s14, v19
	v_fma_f16 v29, v38, s6, v29
	v_fma_f16 v38, v43, s8, v19
	v_add_f16_e32 v19, v28, v72
	v_add_f16_e32 v19, v19, v74
	;; [unrolled: 1-line block ×5, first 2 shown]
	v_fma_f16 v44, v43, s8, v29
	v_fma_f16 v19, v19, -0.5, v28
	v_sub_f16_e32 v29, v64, v71
	v_fma_f16 v43, v29, s7, v19
	v_sub_f16_e32 v45, v68, v69
	v_sub_f16_e32 v46, v72, v74
	;; [unrolled: 1-line block ×3, first 2 shown]
	v_fma_f16 v19, v29, s9, v19
	v_fma_f16 v43, v45, s6, v43
	v_add_f16_e32 v46, v46, v47
	v_fma_f16 v19, v45, s14, v19
	v_fma_f16 v43, v46, s8, v43
	v_fma_f16 v46, v46, s8, v19
	v_add_f16_e32 v19, v72, v80
	v_fma_f16 v19, v19, -0.5, v28
	v_fma_f16 v28, v45, s9, v19
	v_sub_f16_e32 v47, v74, v72
	v_sub_f16_e32 v49, v78, v80
	v_fma_f16 v19, v45, s7, v19
	v_add_f16_e32 v47, v47, v49
	v_fma_f16 v19, v29, s14, v19
	v_fma_f16 v45, v47, s8, v19
	v_add_f16_e32 v19, v26, v65
	v_add_f16_e32 v19, v19, v67
	v_fma_f16 v28, v29, s6, v28
	v_add_f16_e32 v19, v19, v70
	v_fma_f16 v49, v47, s8, v28
	v_add_f16_e32 v47, v19, v73
	v_add_f16_e32 v19, v67, v70
	v_fma_f16 v19, v19, -0.5, v26
	v_sub_f16_e32 v28, v56, v63
	v_fma_f16 v29, v28, s7, v19
	v_sub_f16_e32 v50, v59, v61
	v_sub_f16_e32 v51, v65, v67
	;; [unrolled: 1-line block ×3, first 2 shown]
	v_fma_f16 v19, v28, s9, v19
	v_fma_f16 v29, v50, s6, v29
	v_add_f16_e32 v51, v51, v93
	v_fma_f16 v19, v50, s14, v19
	v_fma_f16 v97, v51, s8, v29
	;; [unrolled: 1-line block ×3, first 2 shown]
	v_add_f16_e32 v19, v65, v73
	v_fma_f16 v19, v19, -0.5, v26
	v_fma_f16 v26, v50, s9, v19
	v_sub_f16_e32 v29, v67, v65
	v_sub_f16_e32 v93, v70, v73
	v_fma_f16 v19, v50, s7, v19
	v_add_f16_e32 v29, v29, v93
	v_fma_f16 v19, v28, s14, v19
	v_fma_f16 v50, v29, s8, v19
	v_add_f16_e32 v19, v27, v57
	v_add_f16_e32 v19, v19, v58
	;; [unrolled: 1-line block ×3, first 2 shown]
	v_fma_f16 v26, v28, s6, v26
	v_add_f16_e32 v99, v19, v66
	v_add_f16_e32 v19, v58, v62
	v_fma_f16 v98, v29, s8, v26
	v_fma_f16 v26, v19, -0.5, v27
	v_sub_f16_e32 v29, v32, v55
	v_fma_f16 v19, v29, s7, v26
	v_sub_f16_e32 v93, v53, v54
	v_sub_f16_e32 v28, v57, v58
	;; [unrolled: 1-line block ×3, first 2 shown]
	v_fma_f16 v26, v29, s9, v26
	v_fma_f16 v19, v93, s6, v19
	v_add_f16_e32 v28, v28, v94
	v_fma_f16 v26, v93, s14, v26
	v_fma_f16 v19, v28, s8, v19
	v_fma_f16 v26, v28, s8, v26
	v_add_f16_e32 v28, v57, v66
	v_fma_f16 v27, v28, -0.5, v27
	v_fma_f16 v28, v93, s9, v27
	v_sub_f16_e32 v94, v58, v57
	v_sub_f16_e32 v95, v62, v66
	v_fma_f16 v27, v93, s7, v27
	v_add_f16_e32 v94, v94, v95
	v_fma_f16 v27, v29, s14, v27
	v_fma_f16 v28, v29, s6, v28
	;; [unrolled: 1-line block ×3, first 2 shown]
	v_mul_u32_u24_e32 v27, 0x5a, v39
	v_mov_b32_e32 v39, 1
	v_lshlrev_b32_sdwa v48, v39, v48 dst_sel:DWORD dst_unused:UNUSED_PAD src0_sel:DWORD src1_sel:BYTE_0
	v_add3_u32 v93, 0, v27, v48
	ds_write_b16 v93, v33
	ds_write_b16 v93, v35 offset:18
	ds_write_b16 v93, v30 offset:36
	;; [unrolled: 1-line block ×4, first 2 shown]
	v_mul_u32_u24_e32 v27, 0x5a, v101
	v_lshlrev_b32_sdwa v30, v39, v102 dst_sel:DWORD dst_unused:UNUSED_PAD src0_sel:DWORD src1_sel:BYTE_0
	v_fma_f16 v28, v94, s8, v28
	v_add3_u32 v94, 0, v27, v30
	v_mul_u32_u24_e32 v27, 0x5a, v103
	v_lshlrev_b32_sdwa v30, v39, v104 dst_sel:DWORD dst_unused:UNUSED_PAD src0_sel:DWORD src1_sel:BYTE_0
	v_add3_u32 v95, 0, v27, v30
	v_lshlrev_b32_sdwa v27, v39, v105 dst_sel:DWORD dst_unused:UNUSED_PAD src0_sel:DWORD src1_sel:BYTE_0
	v_add3_u32 v96, 0, v23, v27
	v_mul_u32_u24_e32 v23, 0x5a, v108
	v_lshlrev_b32_e32 v27, 1, v109
	ds_write_b16 v94, v36
	ds_write_b16 v94, v40 offset:18
	ds_write_b16 v94, v44 offset:36
	ds_write_b16 v94, v38 offset:54
	ds_write_b16 v94, v42 offset:72
	ds_write_b16 v95, v41
	ds_write_b16 v95, v43 offset:18
	ds_write_b16 v95, v49 offset:36
	ds_write_b16 v95, v45 offset:54
	ds_write_b16 v95, v46 offset:72
	ds_write_b16 v96, v47
	ds_write_b16 v96, v97 offset:18
	ds_write_b16 v96, v98 offset:36
	ds_write_b16 v96, v50 offset:54
	ds_write_b16 v96, v51 offset:72
	v_add3_u32 v97, 0, v23, v27
	ds_write_b16 v97, v99
	ds_write_b16 v97, v19 offset:18
	ds_write_b16 v97, v28 offset:36
	ds_write_b16 v97, v29 offset:54
	ds_write_b16 v97, v26 offset:72
	s_waitcnt lgkmcnt(0)
	; wave barrier
	s_waitcnt lgkmcnt(0)
	ds_read_u16 v30, v0
	ds_read_u16 v46, v0 offset:450
	ds_read_u16 v44, v0 offset:576
	ds_read_u16 v43, v0 offset:1026
	ds_read_u16 v42, v0 offset:1476
	ds_read_u16 v41, v0 offset:1926
	ds_read_u16 v47, v0 offset:2700
	ds_read_u16 v38, v0 offset:2826
	ds_read_u16 v23, v16
	ds_read_u16 v48, v0 offset:1350
	ds_read_u16 v36, v0 offset:1152
	;; [unrolled: 1-line block ×10, first 2 shown]
	ds_read_u16 v27, v15
	ds_read_u16 v35, v0 offset:2952
                                        ; implicit-def: $vgpr33
	s_and_saveexec_b64 s[2:3], s[0:1]
	s_cbranch_execz .LBB0_29
; %bb.28:
	ds_read_u16 v28, v0 offset:828
	ds_read_u16 v29, v0 offset:1278
	;; [unrolled: 1-line block ×5, first 2 shown]
	ds_read_u16 v19, v17
	ds_read_u16 v33, v0 offset:3078
.LBB0_29:
	s_or_b64 exec, exec, s[2:3]
	v_add_f16_e32 v99, v86, v87
	v_fma_f16 v99, v99, -0.5, v52
	v_sub_f16_e32 v89, v89, v92
	v_fma_f16 v92, v89, s9, v99
	v_sub_f16_e32 v90, v90, v91
	v_fma_f16 v91, v90, s14, v92
	v_sub_f16_e32 v92, v84, v86
	v_sub_f16_e32 v100, v88, v87
	v_fma_f16 v99, v89, s7, v99
	v_add_f16_e32 v92, v92, v100
	v_fma_f16 v99, v90, s6, v99
	v_fma_f16 v91, v92, s8, v91
	;; [unrolled: 1-line block ×3, first 2 shown]
	v_add_f16_e32 v99, v84, v88
	v_add_f16_e32 v98, v52, v84
	v_fma_f16 v52, v99, -0.5, v52
	v_add_f16_e32 v98, v98, v86
	v_fma_f16 v99, v90, s7, v52
	v_sub_f16_e32 v84, v86, v84
	v_sub_f16_e32 v86, v87, v88
	v_fma_f16 v52, v90, s9, v52
	v_fma_f16 v99, v89, s14, v99
	v_add_f16_e32 v84, v84, v86
	v_fma_f16 v52, v89, s6, v52
	v_fma_f16 v86, v84, s8, v99
	;; [unrolled: 1-line block ×3, first 2 shown]
	v_add_f16_e32 v52, v60, v75
	v_add_f16_e32 v52, v52, v76
	;; [unrolled: 1-line block ×6, first 2 shown]
	v_fma_f16 v52, v52, -0.5, v60
	v_sub_f16_e32 v81, v81, v85
	v_fma_f16 v85, v81, s9, v52
	v_sub_f16_e32 v82, v82, v83
	v_add_f16_e32 v98, v98, v88
	v_fma_f16 v83, v82, s14, v85
	v_sub_f16_e32 v85, v75, v76
	v_sub_f16_e32 v88, v79, v77
	v_fma_f16 v52, v81, s7, v52
	v_add_f16_e32 v85, v85, v88
	v_fma_f16 v52, v82, s6, v52
	v_fma_f16 v83, v85, s8, v83
	;; [unrolled: 1-line block ×3, first 2 shown]
	v_add_f16_e32 v52, v75, v79
	v_fma_f16 v52, v52, -0.5, v60
	v_fma_f16 v60, v82, s7, v52
	v_sub_f16_e32 v75, v76, v75
	v_sub_f16_e32 v76, v77, v79
	v_fma_f16 v52, v82, s9, v52
	v_fma_f16 v60, v81, s14, v60
	v_add_f16_e32 v75, v75, v76
	v_fma_f16 v52, v81, s6, v52
	v_fma_f16 v60, v75, s8, v60
	;; [unrolled: 1-line block ×3, first 2 shown]
	v_add_f16_e32 v52, v31, v64
	v_add_f16_e32 v52, v52, v68
	;; [unrolled: 1-line block ×5, first 2 shown]
	v_fma_f16 v52, v52, -0.5, v31
	v_sub_f16_e32 v72, v72, v80
	v_fma_f16 v77, v72, s9, v52
	v_sub_f16_e32 v74, v74, v78
	v_sub_f16_e32 v78, v64, v68
	;; [unrolled: 1-line block ×3, first 2 shown]
	v_fma_f16 v52, v72, s7, v52
	v_fma_f16 v77, v74, s14, v77
	v_add_f16_e32 v78, v78, v79
	v_fma_f16 v52, v74, s6, v52
	v_fma_f16 v77, v78, s8, v77
	;; [unrolled: 1-line block ×3, first 2 shown]
	v_add_f16_e32 v52, v64, v71
	v_fma_f16 v31, v52, -0.5, v31
	v_fma_f16 v52, v74, s7, v31
	v_sub_f16_e32 v64, v68, v64
	v_sub_f16_e32 v68, v69, v71
	v_fma_f16 v52, v72, s14, v52
	v_add_f16_e32 v64, v64, v68
	v_fma_f16 v68, v64, s8, v52
	v_add_f16_e32 v52, v24, v56
	;; [unrolled: 2-line block ×5, first 2 shown]
	v_add_f16_e32 v52, v59, v61
	v_fma_f16 v52, v52, -0.5, v24
	v_sub_f16_e32 v65, v65, v73
	v_fma_f16 v69, v65, s9, v52
	v_sub_f16_e32 v67, v67, v70
	v_sub_f16_e32 v70, v56, v59
	;; [unrolled: 1-line block ×3, first 2 shown]
	v_fma_f16 v52, v65, s7, v52
	v_fma_f16 v69, v67, s14, v69
	v_add_f16_e32 v70, v70, v71
	v_fma_f16 v52, v67, s6, v52
	v_fma_f16 v69, v70, s8, v69
	;; [unrolled: 1-line block ×3, first 2 shown]
	v_add_f16_e32 v52, v56, v63
	v_fma_f16 v24, v52, -0.5, v24
	v_fma_f16 v52, v67, s7, v24
	v_sub_f16_e32 v56, v59, v56
	v_sub_f16_e32 v59, v61, v63
	v_fma_f16 v24, v67, s9, v24
	v_fma_f16 v52, v65, s14, v52
	v_add_f16_e32 v56, v56, v59
	v_fma_f16 v24, v65, s6, v24
	v_fma_f16 v59, v56, s8, v52
	;; [unrolled: 1-line block ×3, first 2 shown]
	v_add_f16_e32 v24, v25, v32
	v_add_f16_e32 v24, v24, v53
	v_add_f16_e32 v24, v24, v54
	v_add_f16_e32 v61, v24, v55
	v_add_f16_e32 v24, v53, v54
	v_fma_f16 v52, v24, -0.5, v25
	v_sub_f16_e32 v57, v57, v66
	v_fma_f16 v24, v57, s9, v52
	v_sub_f16_e32 v58, v58, v62
	v_sub_f16_e32 v62, v32, v53
	;; [unrolled: 1-line block ×3, first 2 shown]
	v_fma_f16 v52, v57, s7, v52
	v_fma_f16 v24, v58, s14, v24
	v_add_f16_e32 v62, v62, v63
	v_fma_f16 v52, v58, s6, v52
	v_fma_f16 v24, v62, s8, v24
	;; [unrolled: 1-line block ×3, first 2 shown]
	v_add_f16_e32 v62, v32, v55
	v_fma_f16 v25, v62, -0.5, v25
	v_fma_f16 v62, v58, s7, v25
	v_sub_f16_e32 v32, v53, v32
	v_sub_f16_e32 v53, v54, v55
	v_fma_f16 v25, v58, s9, v25
	v_fma_f16 v62, v57, s14, v62
	v_add_f16_e32 v32, v32, v53
	v_fma_f16 v25, v57, s6, v25
	v_fma_f16 v53, v32, s8, v62
	;; [unrolled: 1-line block ×3, first 2 shown]
	s_waitcnt lgkmcnt(0)
	; wave barrier
	s_waitcnt lgkmcnt(0)
	ds_write_b16 v93, v98
	ds_write_b16 v93, v91 offset:18
	ds_write_b16 v93, v86 offset:36
	ds_write_b16 v93, v84 offset:54
	ds_write_b16 v93, v92 offset:72
	ds_write_b16 v94, v87
	ds_write_b16 v94, v83 offset:18
	ds_write_b16 v94, v60 offset:36
	ds_write_b16 v94, v75 offset:54
	ds_write_b16 v94, v85 offset:72
	;; [unrolled: 5-line block ×5, first 2 shown]
	s_waitcnt lgkmcnt(0)
	; wave barrier
	s_waitcnt lgkmcnt(0)
	ds_read_u16 v32, v0
	ds_read_u16 v56, v0 offset:450
	ds_read_u16 v57, v0 offset:576
	;; [unrolled: 1-line block ×7, first 2 shown]
	ds_read_u16 v25, v16
	ds_read_u16 v60, v0 offset:1350
	ds_read_u16 v82, v0 offset:1152
	;; [unrolled: 1-line block ×10, first 2 shown]
	ds_read_u16 v31, v15
	ds_read_u16 v81, v0 offset:2952
                                        ; implicit-def: $vgpr80
	s_and_saveexec_b64 s[2:3], s[0:1]
	s_cbranch_execz .LBB0_31
; %bb.30:
	ds_read_u16 v53, v0 offset:828
	ds_read_u16 v54, v0 offset:1278
	;; [unrolled: 1-line block ×5, first 2 shown]
	ds_read_u16 v24, v17
	ds_read_u16 v80, v0 offset:3078
.LBB0_31:
	s_or_b64 exec, exec, s[2:3]
	v_subrev_u32_e32 v68, 45, v11
	v_cmp_gt_u32_e64 s[2:3], 45, v11
	v_cndmask_b32_e64 v104, v68, v11, s[2:3]
	v_mul_i32_i24_e32 v68, 6, v104
	v_mov_b32_e32 v69, 0
	v_lshlrev_b64 v[68:69], 2, v[68:69]
	v_mov_b32_e32 v70, s13
	v_add_co_u32_e64 v68, s[2:3], s12, v68
	v_addc_co_u32_e64 v69, s[2:3], v70, v69, s[2:3]
	s_movk_i32 s2, 0x6d
	global_load_dwordx4 v[72:75], v[68:69], off offset:168
	global_load_dwordx2 v[78:79], v[68:69], off offset:184
	v_mul_lo_u16_sdwa v69, v10, s2 dst_sel:DWORD dst_unused:UNUSED_PAD src0_sel:BYTE_0 src1_sel:DWORD
	v_sub_u16_sdwa v70, v10, v69 dst_sel:DWORD dst_unused:UNUSED_PAD src0_sel:DWORD src1_sel:BYTE_1
	v_lshrrev_b16_e32 v70, 1, v70
	v_and_b32_e32 v70, 0x7f, v70
	v_add_u16_sdwa v69, v70, v69 dst_sel:DWORD dst_unused:UNUSED_PAD src0_sel:DWORD src1_sel:BYTE_1
	v_lshrrev_b16_e32 v105, 5, v69
	v_mul_lo_u16_e32 v69, 45, v105
	v_mov_b32_e32 v68, 6
	v_sub_u16_e32 v106, v10, v69
	v_mul_u32_u24_sdwa v10, v106, v68 dst_sel:DWORD dst_unused:UNUSED_PAD src0_sel:BYTE_0 src1_sel:DWORD
	v_lshlrev_b32_e32 v10, 2, v10
	global_load_dwordx4 v[86:89], v10, s[12:13] offset:168
	global_load_dwordx2 v[98:99], v10, s[12:13] offset:184
	v_mul_lo_u16_sdwa v10, v13, s2 dst_sel:DWORD dst_unused:UNUSED_PAD src0_sel:BYTE_0 src1_sel:DWORD
	v_sub_u16_sdwa v69, v13, v10 dst_sel:DWORD dst_unused:UNUSED_PAD src0_sel:DWORD src1_sel:BYTE_1
	v_lshrrev_b16_e32 v69, 1, v69
	v_and_b32_e32 v69, 0x7f, v69
	v_add_u16_sdwa v10, v69, v10 dst_sel:DWORD dst_unused:UNUSED_PAD src0_sel:DWORD src1_sel:BYTE_1
	v_lshrrev_b16_e32 v107, 5, v10
	v_mul_lo_u16_e32 v10, 45, v107
	v_sub_u16_e32 v108, v13, v10
	v_mul_u32_u24_sdwa v10, v108, v68 dst_sel:DWORD dst_unused:UNUSED_PAD src0_sel:BYTE_0 src1_sel:DWORD
	v_lshlrev_b32_e32 v10, 2, v10
	global_load_dwordx4 v[90:93], v10, s[12:13] offset:168
	global_load_dwordx2 v[100:101], v10, s[12:13] offset:184
	v_mul_lo_u16_sdwa v13, v14, s2 dst_sel:DWORD dst_unused:UNUSED_PAD src0_sel:BYTE_0 src1_sel:DWORD
	v_sub_u16_sdwa v68, v14, v13 dst_sel:DWORD dst_unused:UNUSED_PAD src0_sel:DWORD src1_sel:BYTE_1
	v_lshrrev_b16_e32 v68, 1, v68
	v_and_b32_e32 v68, 0x7f, v68
	v_add_u16_sdwa v10, v68, v13 dst_sel:DWORD dst_unused:UNUSED_PAD src0_sel:DWORD src1_sel:BYTE_1
	v_lshrrev_b16_e32 v10, 5, v10
	v_mul_lo_u16_e32 v10, 45, v10
	v_sub_u16_e32 v10, v14, v10
	v_and_b32_e32 v109, 0xff, v10
	v_mul_u32_u24_e32 v10, 6, v109
	v_lshlrev_b32_e32 v10, 2, v10
	global_load_dwordx4 v[94:97], v10, s[12:13] offset:168
	global_load_dwordx2 v[102:103], v10, s[12:13] offset:184
	s_movk_i32 s7, 0x2b26
	s_mov_b32 s6, 0xbb00
	s_mov_b32 s8, 0xbcab
	s_movk_i32 s9, 0x39e0
	s_mov_b32 s14, 0xb9e0
	s_mov_b32 s15, 0xb574
	s_movk_i32 s17, 0x3574
	s_mov_b32 s16, 0xb70e
	v_cmp_lt_u32_e64 s[2:3], 44, v11
	s_waitcnt lgkmcnt(0)
	; wave barrier
	s_waitcnt vmcnt(7) lgkmcnt(0)
	v_mul_f16_sdwa v10, v56, v72 dst_sel:DWORD dst_unused:UNUSED_PAD src0_sel:DWORD src1_sel:WORD_1
	v_mul_f16_sdwa v13, v46, v72 dst_sel:DWORD dst_unused:UNUSED_PAD src0_sel:DWORD src1_sel:WORD_1
	v_fma_f16 v68, v46, v72, v10
	v_mul_f16_sdwa v14, v62, v73 dst_sel:DWORD dst_unused:UNUSED_PAD src0_sel:DWORD src1_sel:WORD_1
	v_mul_f16_sdwa v70, v49, v73 dst_sel:DWORD dst_unused:UNUSED_PAD src0_sel:DWORD src1_sel:WORD_1
	;; [unrolled: 1-line block ×5, first 2 shown]
	v_fma_f16 v71, v56, v72, -v13
	v_mul_f16_sdwa v111, v51, v75 dst_sel:DWORD dst_unused:UNUSED_PAD src0_sel:DWORD src1_sel:WORD_1
	v_fma_f16 v69, v49, v73, v14
	v_fma_f16 v72, v62, v73, -v70
	s_waitcnt vmcnt(5)
	v_mul_f16_sdwa v10, v57, v86 dst_sel:DWORD dst_unused:UNUSED_PAD src0_sel:DWORD src1_sel:WORD_1
	v_fma_f16 v56, v44, v86, v10
	s_waitcnt vmcnt(4)
	v_mul_f16_sdwa v10, v45, v98 dst_sel:DWORD dst_unused:UNUSED_PAD src0_sel:DWORD src1_sel:WORD_1
	v_fma_f16 v70, v48, v74, v76
	v_fma_f16 v73, v60, v74, -v77
	v_fma_f16 v74, v51, v75, v110
	v_mul_f16_sdwa v51, v65, v98 dst_sel:DWORD dst_unused:UNUSED_PAD src0_sel:DWORD src1_sel:WORD_1
	v_fma_f16 v65, v65, v98, -v10
	v_mul_f16_sdwa v10, v67, v99 dst_sel:DWORD dst_unused:UNUSED_PAD src0_sel:DWORD src1_sel:WORD_1
	v_fma_f16 v75, v66, v75, -v111
	v_fma_f16 v66, v38, v99, v10
	v_mul_f16_sdwa v10, v38, v99 dst_sel:DWORD dst_unused:UNUSED_PAD src0_sel:DWORD src1_sel:WORD_1
	v_mul_f16_sdwa v112, v64, v78 dst_sel:DWORD dst_unused:UNUSED_PAD src0_sel:DWORD src1_sel:WORD_1
	;; [unrolled: 1-line block ×6, first 2 shown]
	v_fma_f16 v67, v67, v99, -v10
	s_waitcnt vmcnt(3)
	v_mul_f16_sdwa v10, v84, v90 dst_sel:DWORD dst_unused:UNUSED_PAD src0_sel:DWORD src1_sel:WORD_1
	v_fma_f16 v76, v50, v78, v112
	v_fma_f16 v77, v64, v78, -v113
	v_fma_f16 v78, v47, v79, v114
	v_fma_f16 v79, v59, v79, -v115
	v_fma_f16 v59, v57, v86, -v13
	v_fma_f16 v13, v39, v90, v10
	v_mul_f16_sdwa v10, v39, v90 dst_sel:DWORD dst_unused:UNUSED_PAD src0_sel:DWORD src1_sel:WORD_1
	v_mul_f16_sdwa v14, v58, v87 dst_sel:DWORD dst_unused:UNUSED_PAD src0_sel:DWORD src1_sel:WORD_1
	v_fma_f16 v38, v84, v90, -v10
	v_mul_f16_sdwa v10, v82, v91 dst_sel:DWORD dst_unused:UNUSED_PAD src0_sel:DWORD src1_sel:WORD_1
	v_fma_f16 v57, v43, v87, v14
	v_fma_f16 v14, v36, v91, v10
	v_mul_f16_sdwa v10, v36, v91 dst_sel:DWORD dst_unused:UNUSED_PAD src0_sel:DWORD src1_sel:WORD_1
	v_fma_f16 v39, v82, v91, -v10
	v_mul_f16_sdwa v10, v85, v92 dst_sel:DWORD dst_unused:UNUSED_PAD src0_sel:DWORD src1_sel:WORD_1
	v_fma_f16 v36, v40, v92, v10
	v_mul_f16_sdwa v10, v40, v92 dst_sel:DWORD dst_unused:UNUSED_PAD src0_sel:DWORD src1_sel:WORD_1
	v_mul_f16_sdwa v49, v63, v89 dst_sel:DWORD dst_unused:UNUSED_PAD src0_sel:DWORD src1_sel:WORD_1
	v_fma_f16 v40, v85, v92, -v10
	v_mul_f16_sdwa v10, v83, v93 dst_sel:DWORD dst_unused:UNUSED_PAD src0_sel:DWORD src1_sel:WORD_1
	v_mul_f16_sdwa v50, v41, v89 dst_sel:DWORD dst_unused:UNUSED_PAD src0_sel:DWORD src1_sel:WORD_1
	v_fma_f16 v62, v41, v89, v49
	v_fma_f16 v41, v37, v93, v10
	v_mul_f16_sdwa v10, v37, v93 dst_sel:DWORD dst_unused:UNUSED_PAD src0_sel:DWORD src1_sel:WORD_1
	v_mul_f16_sdwa v46, v43, v87 dst_sel:DWORD dst_unused:UNUSED_PAD src0_sel:DWORD src1_sel:WORD_1
	;; [unrolled: 1-line block ×3, first 2 shown]
	v_fma_f16 v37, v83, v93, -v10
	s_waitcnt vmcnt(2)
	v_mul_f16_sdwa v10, v55, v100 dst_sel:DWORD dst_unused:UNUSED_PAD src0_sel:DWORD src1_sel:WORD_1
	v_mul_f16_sdwa v48, v42, v88 dst_sel:DWORD dst_unused:UNUSED_PAD src0_sel:DWORD src1_sel:WORD_1
	v_fma_f16 v60, v58, v87, -v46
	v_fma_f16 v58, v42, v88, v47
	v_fma_f16 v42, v34, v100, v10
	v_mul_f16_sdwa v10, v34, v100 dst_sel:DWORD dst_unused:UNUSED_PAD src0_sel:DWORD src1_sel:WORD_1
	v_fma_f16 v34, v55, v100, -v10
	v_mul_f16_sdwa v10, v81, v101 dst_sel:DWORD dst_unused:UNUSED_PAD src0_sel:DWORD src1_sel:WORD_1
	v_fma_f16 v55, v35, v101, v10
	v_mul_f16_sdwa v10, v35, v101 dst_sel:DWORD dst_unused:UNUSED_PAD src0_sel:DWORD src1_sel:WORD_1
	v_fma_f16 v35, v81, v101, -v10
	s_waitcnt vmcnt(1)
	v_mul_f16_sdwa v10, v53, v94 dst_sel:DWORD dst_unused:UNUSED_PAD src0_sel:DWORD src1_sel:WORD_1
	v_fma_f16 v10, v28, v94, v10
	v_mul_f16_sdwa v28, v28, v94 dst_sel:DWORD dst_unused:UNUSED_PAD src0_sel:DWORD src1_sel:WORD_1
	v_fma_f16 v44, v53, v94, -v28
	v_mul_f16_sdwa v28, v54, v95 dst_sel:DWORD dst_unused:UNUSED_PAD src0_sel:DWORD src1_sel:WORD_1
	v_fma_f16 v43, v29, v95, v28
	v_mul_f16_sdwa v28, v29, v95 dst_sel:DWORD dst_unused:UNUSED_PAD src0_sel:DWORD src1_sel:WORD_1
	v_fma_f16 v46, v54, v95, -v28
	v_mul_f16_sdwa v28, v52, v96 dst_sel:DWORD dst_unused:UNUSED_PAD src0_sel:DWORD src1_sel:WORD_1
	v_fma_f16 v64, v45, v98, v51
	v_fma_f16 v45, v26, v96, v28
	v_mul_f16_sdwa v26, v26, v96 dst_sel:DWORD dst_unused:UNUSED_PAD src0_sel:DWORD src1_sel:WORD_1
	v_fma_f16 v47, v52, v96, -v26
	v_mul_f16_sdwa v26, v22, v97 dst_sel:DWORD dst_unused:UNUSED_PAD src0_sel:DWORD src1_sel:WORD_1
	v_fma_f16 v61, v61, v88, -v48
	v_fma_f16 v48, v20, v97, v26
	v_mul_f16_sdwa v20, v20, v97 dst_sel:DWORD dst_unused:UNUSED_PAD src0_sel:DWORD src1_sel:WORD_1
	v_fma_f16 v49, v22, v97, -v20
	s_waitcnt vmcnt(0)
	v_mul_f16_sdwa v20, v21, v102 dst_sel:DWORD dst_unused:UNUSED_PAD src0_sel:DWORD src1_sel:WORD_1
	v_fma_f16 v63, v63, v89, -v50
	v_fma_f16 v50, v6, v102, v20
	v_mul_f16_sdwa v20, v80, v103 dst_sel:DWORD dst_unused:UNUSED_PAD src0_sel:DWORD src1_sel:WORD_1
	v_fma_f16 v51, v33, v103, v20
	v_mul_f16_sdwa v20, v33, v103 dst_sel:DWORD dst_unused:UNUSED_PAD src0_sel:DWORD src1_sel:WORD_1
	v_mul_f16_sdwa v6, v6, v102 dst_sel:DWORD dst_unused:UNUSED_PAD src0_sel:DWORD src1_sel:WORD_1
	v_fma_f16 v52, v80, v103, -v20
	v_add_f16_e32 v20, v68, v78
	v_add_f16_e32 v22, v69, v76
	v_fma_f16 v6, v21, v102, -v6
	v_sub_f16_e32 v21, v71, v79
	v_sub_f16_e32 v26, v72, v77
	v_add_f16_e32 v28, v70, v74
	v_sub_f16_e32 v29, v75, v73
	v_add_f16_e32 v33, v22, v20
	v_sub_f16_e32 v53, v22, v20
	v_sub_f16_e32 v20, v20, v28
	;; [unrolled: 1-line block ×3, first 2 shown]
	v_add_f16_e32 v54, v29, v26
	v_sub_f16_e32 v80, v29, v26
	v_sub_f16_e32 v26, v26, v21
	v_add_f16_e32 v28, v28, v33
	v_sub_f16_e32 v29, v21, v29
	v_add_f16_e32 v21, v54, v21
	v_add_f16_e32 v30, v30, v28
	v_mul_f16_e32 v20, 0x3a52, v20
	v_mul_f16_e32 v33, 0x2b26, v22
	;; [unrolled: 1-line block ×4, first 2 shown]
	v_fma_f16 v28, v28, s8, v30
	v_fma_f16 v22, v22, s7, v20
	v_fma_f16 v33, v53, s9, -v33
	v_fma_f16 v20, v53, s14, -v20
	v_fma_f16 v53, v29, s15, v54
	v_fma_f16 v26, v26, s6, -v54
	v_fma_f16 v29, v29, s17, -v80
	v_add_f16_e32 v22, v22, v28
	v_add_f16_e32 v33, v33, v28
	;; [unrolled: 1-line block ×3, first 2 shown]
	v_fma_f16 v28, v21, s16, v53
	v_fma_f16 v26, v21, s16, v26
	;; [unrolled: 1-line block ×3, first 2 shown]
	v_add_f16_e32 v29, v28, v22
	v_add_f16_e32 v53, v21, v20
	v_sub_f16_e32 v80, v33, v26
	v_add_f16_e32 v26, v26, v33
	v_sub_f16_e32 v20, v20, v21
	v_sub_f16_e32 v21, v22, v28
	v_add_f16_e32 v22, v56, v66
	v_add_f16_e32 v33, v57, v64
	v_sub_f16_e32 v28, v59, v67
	v_sub_f16_e32 v54, v60, v65
	v_add_f16_e32 v81, v58, v62
	v_sub_f16_e32 v82, v63, v61
	v_add_f16_e32 v83, v33, v22
	v_sub_f16_e32 v84, v33, v22
	v_sub_f16_e32 v22, v22, v81
	;; [unrolled: 1-line block ×3, first 2 shown]
	v_add_f16_e32 v85, v82, v54
	v_sub_f16_e32 v86, v82, v54
	v_sub_f16_e32 v54, v54, v28
	v_add_f16_e32 v81, v81, v83
	v_sub_f16_e32 v82, v28, v82
	v_add_f16_e32 v28, v85, v28
	v_add_f16_e32 v27, v27, v81
	v_mul_f16_e32 v22, 0x3a52, v22
	v_mul_f16_e32 v83, 0x2b26, v33
	;; [unrolled: 1-line block ×4, first 2 shown]
	v_fma_f16 v81, v81, s8, v27
	v_fma_f16 v33, v33, s7, v22
	v_fma_f16 v83, v84, s9, -v83
	v_fma_f16 v22, v84, s14, -v22
	v_fma_f16 v84, v82, s15, v85
	v_fma_f16 v54, v54, s6, -v85
	v_fma_f16 v82, v82, s17, -v86
	v_add_f16_e32 v33, v33, v81
	v_add_f16_e32 v83, v83, v81
	v_add_f16_e32 v22, v22, v81
	v_fma_f16 v81, v28, s16, v84
	v_fma_f16 v54, v28, s16, v54
	;; [unrolled: 1-line block ×3, first 2 shown]
	v_add_f16_e32 v82, v81, v33
	v_add_f16_e32 v84, v28, v22
	v_sub_f16_e32 v22, v22, v28
	v_sub_f16_e32 v28, v33, v81
	v_add_f16_e32 v33, v13, v55
	v_add_f16_e32 v81, v14, v42
	v_sub_f16_e32 v85, v83, v54
	v_add_f16_e32 v83, v54, v83
	v_sub_f16_e32 v54, v38, v35
	v_sub_f16_e32 v86, v39, v34
	v_add_f16_e32 v87, v36, v41
	v_sub_f16_e32 v88, v37, v40
	v_add_f16_e32 v89, v81, v33
	v_sub_f16_e32 v90, v81, v33
	v_sub_f16_e32 v33, v33, v87
	;; [unrolled: 1-line block ×3, first 2 shown]
	v_add_f16_e32 v91, v88, v86
	v_sub_f16_e32 v92, v88, v86
	v_sub_f16_e32 v86, v86, v54
	v_add_f16_e32 v87, v87, v89
	v_sub_f16_e32 v88, v54, v88
	v_add_f16_e32 v54, v91, v54
	v_add_f16_e32 v23, v23, v87
	v_mul_f16_e32 v33, 0x3a52, v33
	v_mul_f16_e32 v89, 0x2b26, v81
	;; [unrolled: 1-line block ×4, first 2 shown]
	v_fma_f16 v87, v87, s8, v23
	v_fma_f16 v81, v81, s7, v33
	v_fma_f16 v89, v90, s9, -v89
	v_fma_f16 v33, v90, s14, -v33
	v_fma_f16 v90, v88, s15, v91
	v_fma_f16 v86, v86, s6, -v91
	v_fma_f16 v88, v88, s17, -v92
	v_add_f16_e32 v81, v81, v87
	v_add_f16_e32 v89, v89, v87
	v_add_f16_e32 v33, v33, v87
	v_fma_f16 v87, v54, s16, v90
	v_fma_f16 v86, v54, s16, v86
	;; [unrolled: 1-line block ×3, first 2 shown]
	v_add_f16_e32 v90, v54, v33
	v_sub_f16_e32 v33, v33, v54
	v_mov_b32_e32 v54, 0x276
	v_add_f16_e32 v88, v87, v81
	v_sub_f16_e32 v87, v81, v87
	v_cndmask_b32_e64 v54, 0, v54, s[2:3]
	v_lshlrev_b32_e32 v81, 1, v104
	v_add3_u32 v54, 0, v54, v81
	ds_write_b16 v54, v30
	ds_write_b16 v54, v29 offset:90
	ds_write_b16 v54, v53 offset:180
	;; [unrolled: 1-line block ×6, first 2 shown]
	v_mov_b32_e32 v21, 1
	v_mul_u32_u24_e32 v20, 0x276, v105
	v_lshlrev_b32_sdwa v26, v21, v106 dst_sel:DWORD dst_unused:UNUSED_PAD src0_sel:DWORD src1_sel:BYTE_0
	v_add3_u32 v80, 0, v20, v26
	v_mul_u32_u24_e32 v20, 0x276, v107
	v_lshlrev_b32_sdwa v21, v21, v108 dst_sel:DWORD dst_unused:UNUSED_PAD src0_sel:DWORD src1_sel:BYTE_0
	v_add3_u32 v81, 0, v20, v21
	v_lshl_add_u32 v53, v109, 1, 0
	v_sub_f16_e32 v91, v89, v86
	v_add_f16_e32 v86, v86, v89
	ds_write_b16 v80, v27
	ds_write_b16 v80, v82 offset:90
	ds_write_b16 v80, v84 offset:180
	;; [unrolled: 1-line block ×6, first 2 shown]
	ds_write_b16 v81, v23
	ds_write_b16 v81, v88 offset:90
	ds_write_b16 v81, v90 offset:180
	;; [unrolled: 1-line block ×6, first 2 shown]
	s_and_saveexec_b64 s[2:3], s[0:1]
	s_cbranch_execz .LBB0_33
; %bb.32:
	v_add_f16_e32 v20, v10, v51
	v_add_f16_e32 v23, v43, v50
	v_add_f16_e32 v21, v45, v48
	v_add_f16_e32 v28, v23, v20
	v_sub_f16_e32 v22, v20, v21
	v_sub_f16_e32 v26, v21, v23
	v_add_f16_e32 v21, v21, v28
	v_sub_f16_e32 v28, v44, v52
	v_sub_f16_e32 v29, v49, v47
	;; [unrolled: 1-line block ×5, first 2 shown]
	v_add_f16_e32 v29, v29, v33
	v_sub_f16_e32 v20, v23, v20
	v_sub_f16_e32 v23, v33, v28
	v_mul_f16_e32 v22, 0x3a52, v22
	v_mul_f16_e32 v27, 0x2b26, v26
	v_add_f16_e32 v19, v19, v21
	v_mul_f16_e32 v82, 0x3846, v82
	v_add_f16_e32 v29, v29, v28
	v_mul_f16_e32 v28, 0xbb00, v23
	v_fma_f16 v26, v26, s7, v22
	v_fma_f16 v21, v21, s8, v19
	;; [unrolled: 1-line block ×3, first 2 shown]
	v_fma_f16 v22, v20, s14, -v22
	v_fma_f16 v28, v30, s17, -v28
	;; [unrolled: 1-line block ×4, first 2 shown]
	v_add_f16_e32 v26, v26, v21
	v_fma_f16 v83, v29, s16, v83
	v_add_f16_e32 v22, v22, v21
	v_fma_f16 v28, v29, s16, v28
	v_fma_f16 v23, v29, s16, v23
	v_add_f16_e32 v20, v20, v21
	v_sub_f16_e32 v84, v26, v83
	v_sub_f16_e32 v30, v22, v28
	v_add_f16_e32 v21, v23, v20
	v_sub_f16_e32 v20, v20, v23
	v_add_f16_e32 v22, v28, v22
	v_add_f16_e32 v23, v83, v26
	ds_write_b16 v53, v19 offset:2520
	ds_write_b16 v53, v23 offset:2610
	ds_write_b16 v53, v22 offset:2700
	ds_write_b16 v53, v20 offset:2790
	ds_write_b16 v53, v21 offset:2880
	ds_write_b16 v53, v30 offset:2970
	ds_write_b16 v53, v84 offset:3060
.LBB0_33:
	s_or_b64 exec, exec, s[2:3]
	v_add_f16_e32 v19, v71, v79
	v_add_f16_e32 v21, v72, v77
	v_sub_f16_e32 v20, v68, v78
	v_sub_f16_e32 v22, v69, v76
	v_add_f16_e32 v23, v73, v75
	v_sub_f16_e32 v26, v74, v70
	v_add_f16_e32 v27, v21, v19
	v_sub_f16_e32 v28, v21, v19
	v_sub_f16_e32 v19, v19, v23
	;; [unrolled: 1-line block ×3, first 2 shown]
	v_add_f16_e32 v29, v26, v22
	v_sub_f16_e32 v30, v26, v22
	v_sub_f16_e32 v22, v22, v20
	v_add_f16_e32 v23, v23, v27
	v_sub_f16_e32 v26, v20, v26
	v_add_f16_e32 v20, v29, v20
	v_add_f16_e32 v68, v32, v23
	v_mul_f16_e32 v19, 0x3a52, v19
	v_mul_f16_e32 v27, 0x2b26, v21
	;; [unrolled: 1-line block ×4, first 2 shown]
	v_fma_f16 v23, v23, s8, v68
	v_fma_f16 v21, v21, s7, v19
	v_fma_f16 v27, v28, s9, -v27
	v_fma_f16 v19, v28, s14, -v19
	v_fma_f16 v28, v26, s15, v29
	v_fma_f16 v22, v22, s6, -v29
	v_fma_f16 v26, v26, s17, -v30
	v_add_f16_e32 v21, v21, v23
	v_add_f16_e32 v27, v27, v23
	;; [unrolled: 1-line block ×3, first 2 shown]
	v_fma_f16 v23, v20, s16, v28
	v_fma_f16 v22, v20, s16, v22
	;; [unrolled: 1-line block ×3, first 2 shown]
	v_sub_f16_e32 v69, v21, v23
	v_sub_f16_e32 v70, v19, v20
	v_add_f16_e32 v73, v20, v19
	v_add_f16_e32 v74, v23, v21
	;; [unrolled: 1-line block ×5, first 2 shown]
	v_sub_f16_e32 v72, v27, v22
	v_sub_f16_e32 v20, v56, v66
	v_sub_f16_e32 v22, v57, v64
	v_add_f16_e32 v23, v61, v63
	v_sub_f16_e32 v26, v62, v58
	v_add_f16_e32 v27, v21, v19
	v_sub_f16_e32 v28, v21, v19
	v_sub_f16_e32 v19, v19, v23
	;; [unrolled: 1-line block ×3, first 2 shown]
	v_add_f16_e32 v29, v26, v22
	v_sub_f16_e32 v30, v26, v22
	v_sub_f16_e32 v22, v22, v20
	v_add_f16_e32 v23, v23, v27
	v_sub_f16_e32 v26, v20, v26
	v_add_f16_e32 v20, v29, v20
	v_add_f16_e32 v56, v31, v23
	v_mul_f16_e32 v19, 0x3a52, v19
	v_mul_f16_e32 v27, 0x2b26, v21
	;; [unrolled: 1-line block ×4, first 2 shown]
	v_fma_f16 v23, v23, s8, v56
	v_fma_f16 v21, v21, s7, v19
	v_fma_f16 v27, v28, s9, -v27
	v_fma_f16 v19, v28, s14, -v19
	v_fma_f16 v28, v26, s15, v29
	v_fma_f16 v22, v22, s6, -v29
	v_fma_f16 v26, v26, s17, -v30
	v_add_f16_e32 v21, v21, v23
	v_add_f16_e32 v27, v27, v23
	;; [unrolled: 1-line block ×3, first 2 shown]
	v_fma_f16 v23, v20, s16, v28
	v_fma_f16 v22, v20, s16, v22
	;; [unrolled: 1-line block ×3, first 2 shown]
	v_sub_f16_e32 v58, v19, v20
	v_add_f16_e32 v61, v20, v19
	v_add_f16_e32 v19, v38, v35
	;; [unrolled: 1-line block ×3, first 2 shown]
	v_sub_f16_e32 v57, v21, v23
	v_add_f16_e32 v59, v22, v27
	v_sub_f16_e32 v60, v27, v22
	v_add_f16_e32 v62, v23, v21
	v_sub_f16_e32 v13, v13, v55
	v_sub_f16_e32 v14, v14, v42
	v_add_f16_e32 v21, v40, v37
	v_sub_f16_e32 v22, v41, v36
	v_add_f16_e32 v23, v20, v19
	v_sub_f16_e32 v26, v20, v19
	v_sub_f16_e32 v19, v19, v21
	;; [unrolled: 1-line block ×3, first 2 shown]
	v_add_f16_e32 v27, v22, v14
	v_sub_f16_e32 v28, v22, v14
	v_sub_f16_e32 v14, v14, v13
	v_add_f16_e32 v21, v21, v23
	v_sub_f16_e32 v22, v13, v22
	v_add_f16_e32 v13, v27, v13
	v_add_f16_e32 v55, v25, v21
	v_mul_f16_e32 v19, 0x3a52, v19
	v_mul_f16_e32 v23, 0x2b26, v20
	;; [unrolled: 1-line block ×4, first 2 shown]
	v_fma_f16 v21, v21, s8, v55
	v_fma_f16 v20, v20, s7, v19
	v_fma_f16 v23, v26, s9, -v23
	v_fma_f16 v19, v26, s14, -v19
	v_fma_f16 v26, v22, s15, v25
	v_fma_f16 v14, v14, s6, -v25
	v_fma_f16 v22, v22, s17, -v27
	v_add_f16_e32 v20, v20, v21
	v_add_f16_e32 v23, v23, v21
	;; [unrolled: 1-line block ×3, first 2 shown]
	v_fma_f16 v21, v13, s16, v26
	v_fma_f16 v14, v13, s16, v14
	;; [unrolled: 1-line block ×3, first 2 shown]
	v_sub_f16_e32 v63, v20, v21
	v_sub_f16_e32 v64, v19, v13
	v_add_f16_e32 v65, v14, v23
	v_sub_f16_e32 v66, v23, v14
	v_add_f16_e32 v67, v13, v19
	v_add_f16_e32 v75, v21, v20
	s_waitcnt lgkmcnt(0)
	; wave barrier
	s_waitcnt lgkmcnt(0)
	ds_read_u16 v14, v12
	ds_read_u16 v25, v0 offset:1386
	ds_read_u16 v33, v0 offset:1512
	ds_read_u16 v13, v0
	ds_read_u16 v28, v0 offset:756
	ds_read_u16 v35, v0 offset:882
	;; [unrolled: 1-line block ×10, first 2 shown]
	ds_read_u16 v32, v16
	ds_read_u16 v37, v17
	;; [unrolled: 1-line block ×3, first 2 shown]
	ds_read_u16 v19, v0 offset:1260
	ds_read_u16 v22, v0 offset:1134
	;; [unrolled: 1-line block ×6, first 2 shown]
	ds_read_u16 v23, v15
	ds_read_u16 v30, v0 offset:3024
	s_waitcnt lgkmcnt(0)
	; wave barrier
	s_waitcnt lgkmcnt(0)
	ds_write_b16 v54, v68
	ds_write_b16 v54, v69 offset:90
	ds_write_b16 v54, v70 offset:180
	ds_write_b16 v54, v71 offset:270
	ds_write_b16 v54, v72 offset:360
	ds_write_b16 v54, v73 offset:450
	ds_write_b16 v54, v74 offset:540
	ds_write_b16 v80, v56
	ds_write_b16 v80, v57 offset:90
	ds_write_b16 v80, v58 offset:180
	ds_write_b16 v80, v59 offset:270
	ds_write_b16 v80, v60 offset:360
	ds_write_b16 v80, v61 offset:450
	ds_write_b16 v80, v62 offset:540
	;; [unrolled: 7-line block ×3, first 2 shown]
	s_and_saveexec_b64 s[2:3], s[0:1]
	s_cbranch_execz .LBB0_35
; %bb.34:
	v_add_f16_e32 v44, v44, v52
	v_add_f16_e32 v6, v46, v6
	;; [unrolled: 1-line block ×3, first 2 shown]
	v_sub_f16_e32 v45, v48, v45
	v_add_f16_e32 v47, v6, v44
	v_sub_f16_e32 v48, v6, v44
	v_sub_f16_e32 v44, v44, v46
	v_sub_f16_e32 v6, v46, v6
	v_mul_f16_e32 v44, 0x3a52, v44
	s_movk_i32 s0, 0x2b26
	v_sub_f16_e32 v43, v43, v50
	v_add_f16_e32 v46, v46, v47
	v_mul_f16_e32 v47, 0x2b26, v6
	v_fma_f16 v6, v6, s0, v44
	s_movk_i32 s0, 0x39e0
	v_sub_f16_e32 v10, v10, v51
	v_add_f16_e32 v49, v45, v43
	v_sub_f16_e32 v50, v45, v43
	v_fma_f16 v47, v48, s0, -v47
	s_mov_b32 s0, 0xb9e0
	v_sub_f16_e32 v45, v10, v45
	v_sub_f16_e32 v43, v43, v10
	v_add_f16_e32 v10, v49, v10
	v_mul_f16_e32 v49, 0x3846, v50
	v_fma_f16 v44, v48, s0, -v44
	s_mov_b32 s0, 0xb574
	v_add_f16_e32 v24, v24, v46
	s_mov_b32 s1, 0xbb00
	v_mul_f16_e32 v50, 0xbb00, v43
	s_mov_b32 s6, 0xbcab
	v_fma_f16 v48, v45, s0, v49
	s_movk_i32 s0, 0x3574
	v_fma_f16 v46, v46, s6, v24
	v_fma_f16 v43, v43, s1, -v49
	v_fma_f16 v45, v45, s0, -v50
	s_mov_b32 s0, 0xb70e
	v_add_f16_e32 v6, v6, v46
	v_add_f16_e32 v47, v47, v46
	;; [unrolled: 1-line block ×3, first 2 shown]
	v_fma_f16 v46, v10, s0, v48
	v_fma_f16 v43, v10, s0, v43
	;; [unrolled: 1-line block ×3, first 2 shown]
	v_sub_f16_e32 v45, v6, v46
	v_sub_f16_e32 v48, v44, v10
	v_add_f16_e32 v49, v43, v47
	v_sub_f16_e32 v43, v47, v43
	v_add_f16_e32 v10, v10, v44
	v_add_f16_e32 v6, v46, v6
	ds_write_b16 v53, v24 offset:2520
	ds_write_b16 v53, v45 offset:2610
	;; [unrolled: 1-line block ×7, first 2 shown]
.LBB0_35:
	s_or_b64 exec, exec, s[2:3]
	s_waitcnt lgkmcnt(0)
	; wave barrier
	s_waitcnt lgkmcnt(0)
	s_and_saveexec_b64 s[0:1], vcc
	s_cbranch_execz .LBB0_37
; %bb.36:
	v_mov_b32_e32 v6, 0
	v_lshlrev_b64 v[44:45], 2, v[5:6]
	v_mov_b32_e32 v43, s13
	v_add_co_u32_e32 v44, vcc, s12, v44
	v_addc_co_u32_e32 v45, vcc, v43, v45, vcc
	global_load_dwordx4 v[44:47], v[44:45], off offset:1248
	v_mov_b32_e32 v10, v6
	v_lshlrev_b64 v[9:10], 2, v[9:10]
	ds_read_u16 v56, v0 offset:2520
	ds_read_u16 v52, v0 offset:2394
	;; [unrolled: 1-line block ×13, first 2 shown]
	v_add_co_u32_e32 v9, vcc, s12, v9
	v_addc_co_u32_e32 v10, vcc, v43, v10, vcc
	global_load_dwordx4 v[48:51], v[9:10], off offset:1248
	v_mul_lo_u32 v5, s5, v3
	v_mul_lo_u32 v24, s4, v4
	v_mad_u64_u32 v[3:4], s[0:1], s4, v3, 0
	ds_read_u16 v9, v18
	ds_read_u16 v66, v17
	;; [unrolled: 1-line block ×4, first 2 shown]
	ds_read_u16 v10, v0 offset:3024
	ds_read_u16 v69, v0 offset:2898
	s_movk_i32 s0, 0x3b9c
	v_add3_u32 v4, v4, v24, v5
	s_mov_b32 s3, 0xbb9c
	s_mov_b32 s2, 0xb8b4
	s_movk_i32 s4, 0x38b4
	s_movk_i32 s1, 0x34f2
	s_mov_b32 s5, 0xa01a01a1
	v_lshlrev_b64 v[3:4], 2, v[3:4]
	s_waitcnt vmcnt(1)
	v_mul_f16_sdwa v5, v42, v45 dst_sel:DWORD dst_unused:UNUSED_PAD src0_sel:DWORD src1_sel:WORD_1
	v_mul_f16_sdwa v15, v22, v44 dst_sel:DWORD dst_unused:UNUSED_PAD src0_sel:DWORD src1_sel:WORD_1
	v_mul_f16_sdwa v16, v26, v46 dst_sel:DWORD dst_unused:UNUSED_PAD src0_sel:DWORD src1_sel:WORD_1
	v_mul_f16_sdwa v17, v30, v47 dst_sel:DWORD dst_unused:UNUSED_PAD src0_sel:DWORD src1_sel:WORD_1
	s_waitcnt lgkmcnt(12)
	v_mul_f16_sdwa v18, v53, v45 dst_sel:DWORD dst_unused:UNUSED_PAD src0_sel:DWORD src1_sel:WORD_1
	v_mul_f16_sdwa v24, v52, v46 dst_sel:DWORD dst_unused:UNUSED_PAD src0_sel:DWORD src1_sel:WORD_1
	s_waitcnt lgkmcnt(7)
	v_mul_f16_sdwa v55, v54, v44 dst_sel:DWORD dst_unused:UNUSED_PAD src0_sel:DWORD src1_sel:WORD_1
	s_waitcnt lgkmcnt(1)
	v_mul_f16_sdwa v70, v10, v47 dst_sel:DWORD dst_unused:UNUSED_PAD src0_sel:DWORD src1_sel:WORD_1
	v_fma_f16 v5, v45, v53, -v5
	v_fma_f16 v53, v44, v54, -v15
	;; [unrolled: 1-line block ×4, first 2 shown]
	v_fma_f16 v42, v42, v45, v18
	v_fma_f16 v45, v26, v46, v24
	;; [unrolled: 1-line block ×4, first 2 shown]
	v_sub_f16_e32 v10, v5, v53
	v_sub_f16_e32 v15, v52, v17
	v_add_f16_e32 v18, v53, v17
	v_add_f16_e32 v26, v44, v46
	v_sub_f16_e32 v16, v42, v45
	v_sub_f16_e32 v22, v42, v44
	;; [unrolled: 1-line block ×6, first 2 shown]
	v_add_f16_e32 v71, v5, v52
	v_add_f16_e32 v72, v10, v15
	v_fma_f16 v10, v18, -0.5, v9
	v_fma_f16 v15, v26, -0.5, v31
	v_sub_f16_e32 v30, v44, v46
	v_sub_f16_e32 v47, v53, v17
	v_add_f16_e32 v22, v22, v24
	v_add_f16_e32 v55, v55, v70
	v_fma_f16 v70, v71, -0.5, v9
	v_fma_f16 v18, v16, s0, v10
	v_fma_f16 v24, v54, s3, v15
	;; [unrolled: 1-line block ×4, first 2 shown]
	v_add_f16_e32 v9, v53, v9
	v_fma_f16 v18, v30, s2, v18
	v_fma_f16 v24, v47, s4, v24
	;; [unrolled: 1-line block ×4, first 2 shown]
	v_add_f16_e32 v5, v5, v9
	v_mov_b32_e32 v9, v6
	v_fma_f16 v10, v72, s1, v18
	v_fma_f16 v15, v22, s1, v24
	;; [unrolled: 1-line block ×4, first 2 shown]
	v_sub_f16_e32 v26, v44, v42
	v_sub_f16_e32 v71, v46, v45
	v_lshlrev_b64 v[8:9], 2, v[8:9]
	v_add_f16_e32 v71, v26, v71
	v_add_f16_e32 v26, v42, v45
	v_fma_f16 v24, v30, s0, v70
	v_fma_f16 v72, v26, -0.5, v31
	v_fma_f16 v30, v30, s3, v70
	v_add_f16_e32 v5, v52, v5
	v_add_co_u32_e32 v8, vcc, s12, v8
	v_fma_f16 v24, v16, s4, v24
	v_fma_f16 v26, v47, s3, v72
	;; [unrolled: 1-line block ×3, first 2 shown]
	v_add_f16_e32 v30, v17, v5
	v_fma_f16 v5, v47, s0, v72
	v_addc_co_u32_e32 v9, vcc, v43, v9, vcc
	v_fma_f16 v24, v55, s1, v24
	v_fma_f16 v26, v54, s2, v26
	;; [unrolled: 1-line block ×4, first 2 shown]
	global_load_dwordx4 v[52:55], v[8:9], off offset:1248
	v_fma_f16 v17, v71, s1, v5
	v_add_f16_e32 v5, v31, v44
	v_add_f16_e32 v5, v42, v5
	;; [unrolled: 1-line block ×4, first 2 shown]
	s_waitcnt vmcnt(1)
	v_mul_f16_sdwa v5, v40, v49 dst_sel:DWORD dst_unused:UNUSED_PAD src0_sel:DWORD src1_sel:WORD_1
	v_mul_f16_sdwa v8, v38, v48 dst_sel:DWORD dst_unused:UNUSED_PAD src0_sel:DWORD src1_sel:WORD_1
	;; [unrolled: 1-line block ×4, first 2 shown]
	v_fma_f16 v5, v49, v61, -v5
	v_fma_f16 v8, v48, v65, -v8
	;; [unrolled: 1-line block ×3, first 2 shown]
	s_waitcnt lgkmcnt(0)
	v_fma_f16 v45, v51, v69, -v44
	v_sub_f16_e32 v9, v5, v8
	v_sub_f16_e32 v44, v42, v45
	v_add_f16_e32 v47, v9, v44
	v_mul_f16_sdwa v9, v61, v49 dst_sel:DWORD dst_unused:UNUSED_PAD src0_sel:DWORD src1_sel:WORD_1
	v_fma_f16 v40, v40, v49, v9
	v_mul_f16_sdwa v9, v57, v50 dst_sel:DWORD dst_unused:UNUSED_PAD src0_sel:DWORD src1_sel:WORD_1
	v_fma_f16 v46, v41, v50, v9
	;; [unrolled: 2-line block ×4, first 2 shown]
	v_sub_f16_e32 v38, v40, v48
	v_sub_f16_e32 v41, v46, v39
	v_add_f16_e32 v9, v8, v45
	v_add_f16_e32 v57, v38, v41
	v_sub_f16_e32 v61, v8, v45
	v_sub_f16_e32 v41, v8, v5
	v_sub_f16_e32 v44, v45, v42
	v_add_f16_e32 v8, v8, v66
	v_sub_f16_e32 v69, v5, v42
	v_add_f16_e32 v72, v41, v44
	v_add_f16_e32 v41, v5, v42
	;; [unrolled: 1-line block ×7, first 2 shown]
	v_sub_f16_e32 v49, v40, v46
	v_fma_f16 v50, v9, -0.5, v66
	v_sub_f16_e32 v44, v48, v40
	v_sub_f16_e32 v74, v39, v46
	v_add_f16_e32 v5, v5, v46
	v_sub_f16_e32 v51, v48, v39
	v_add_f16_e32 v74, v44, v74
	v_add_f16_e32 v44, v40, v46
	;; [unrolled: 1-line block ×3, first 2 shown]
	v_fma_f16 v5, v49, s3, v50
	v_fma_f16 v73, v41, -0.5, v66
	v_fma_f16 v5, v51, s4, v5
	v_add_f16_e32 v38, v48, v39
	v_fma_f16 v40, v47, s1, v5
	v_fma_f16 v5, v51, s3, v73
	v_mov_b32_e32 v8, v6
	v_fma_f16 v26, v71, s1, v26
	ds_read_u16 v71, v0 offset:2772
	v_fma_f16 v65, v38, -0.5, v37
	v_fma_f16 v5, v49, s2, v5
	v_lshlrev_b64 v[7:8], 2, v[7:8]
	ds_read_u16 v70, v0 offset:882
	v_fma_f16 v75, v44, -0.5, v37
	v_fma_f16 v37, v72, s1, v5
	v_fma_f16 v5, v69, s0, v65
	;; [unrolled: 1-line block ×4, first 2 shown]
	v_add_co_u32_e32 v7, vcc, s12, v7
	v_fma_f16 v9, v51, s2, v9
	v_fma_f16 v41, v51, s0, v73
	;; [unrolled: 1-line block ×4, first 2 shown]
	v_addc_co_u32_e32 v8, vcc, v43, v8, vcc
	v_fma_f16 v9, v47, s1, v9
	v_fma_f16 v38, v69, s3, v65
	;; [unrolled: 1-line block ×4, first 2 shown]
	global_load_dwordx4 v[47:50], v[7:8], off offset:1248
	s_waitcnt vmcnt(1)
	v_mul_f16_sdwa v8, v36, v55 dst_sel:DWORD dst_unused:UNUSED_PAD src0_sel:DWORD src1_sel:WORD_1
	v_fma_f16 v38, v61, s4, v38
	v_fma_f16 v44, v61, s3, v75
	ds_read_u16 v61, v0 offset:2646
	v_fma_f16 v39, v74, s1, v5
	v_mul_f16_sdwa v5, v35, v52 dst_sel:DWORD dst_unused:UNUSED_PAD src0_sel:DWORD src1_sel:WORD_1
	v_mul_f16_sdwa v7, v33, v53 dst_sel:DWORD dst_unused:UNUSED_PAD src0_sel:DWORD src1_sel:WORD_1
	s_waitcnt lgkmcnt(2)
	v_fma_f16 v65, v55, v71, -v8
	v_mul_f16_sdwa v8, v34, v54 dst_sel:DWORD dst_unused:UNUSED_PAD src0_sel:DWORD src1_sel:WORD_1
	v_fma_f16 v38, v57, s1, v38
	ds_read_u16 v51, v0 offset:756
	s_waitcnt lgkmcnt(2)
	v_fma_f16 v5, v52, v70, -v5
	v_fma_f16 v57, v53, v62, -v7
	v_fma_f16 v66, v54, v58, -v8
	v_sub_f16_e32 v7, v5, v57
	v_sub_f16_e32 v8, v65, v66
	v_fma_f16 v44, v69, s2, v44
	v_add_f16_e32 v69, v7, v8
	v_add_f16_e32 v7, v57, v66
	v_fma_f16 v41, v72, s1, v41
	v_fma_f16 v72, v7, -0.5, v67
	v_mul_f16_sdwa v7, v70, v52 dst_sel:DWORD dst_unused:UNUSED_PAD src0_sel:DWORD src1_sel:WORD_1
	v_mul_f16_sdwa v8, v62, v53 dst_sel:DWORD dst_unused:UNUSED_PAD src0_sel:DWORD src1_sel:WORD_1
	v_fma_f16 v52, v35, v52, v7
	v_mul_f16_sdwa v7, v71, v55 dst_sel:DWORD dst_unused:UNUSED_PAD src0_sel:DWORD src1_sel:WORD_1
	v_fma_f16 v53, v33, v53, v8
	;; [unrolled: 2-line block ×3, first 2 shown]
	v_fma_f16 v54, v34, v54, v8
	v_sub_f16_e32 v8, v52, v53
	v_sub_f16_e32 v34, v55, v54
	v_add_f16_e32 v34, v8, v34
	v_add_f16_e32 v8, v53, v54
	v_sub_f16_e32 v35, v52, v55
	v_fma_f16 v36, v8, -0.5, v32
	v_sub_f16_e32 v58, v5, v65
	v_fma_f16 v7, v35, s3, v72
	v_sub_f16_e32 v33, v53, v54
	v_fma_f16 v8, v58, s0, v36
	;; [unrolled: 2-line block ×3, first 2 shown]
	v_fma_f16 v36, v58, s3, v36
	v_fma_f16 v7, v33, s2, v7
	;; [unrolled: 1-line block ×9, first 2 shown]
	v_sub_f16_e32 v34, v57, v5
	v_sub_f16_e32 v36, v66, v65
	v_add_f16_e32 v34, v34, v36
	v_add_f16_e32 v36, v5, v65
	v_fma_f16 v36, v36, -0.5, v67
	v_add_f16_e32 v5, v5, v67
	v_fma_f16 v71, v33, s0, v36
	v_fma_f16 v33, v33, s3, v36
	v_add_f16_e32 v5, v57, v5
	v_fma_f16 v33, v35, s4, v33
	v_add_f16_e32 v5, v66, v5
	;; [unrolled: 2-line block ×3, first 2 shown]
	v_sub_f16_e32 v5, v53, v52
	v_sub_f16_e32 v33, v54, v55
	v_add_f16_e32 v65, v5, v33
	v_add_f16_e32 v5, v52, v55
	v_fma_f16 v5, v5, -0.5, v32
	v_fma_f16 v33, v62, s3, v5
	v_fma_f16 v5, v62, s0, v5
	;; [unrolled: 1-line block ×4, first 2 shown]
	v_lshlrev_b32_e32 v5, 2, v11
	v_lshlrev_b64 v[5:6], 2, v[5:6]
	v_fma_f16 v71, v35, s2, v71
	v_add_co_u32_e32 v5, vcc, s12, v5
	v_addc_co_u32_e32 v6, vcc, v43, v6, vcc
	v_fma_f16 v71, v34, s1, v71
	v_fma_f16 v66, v65, s1, v33
	global_load_dwordx4 v[33:36], v[5:6], off offset:1248
	v_add_f16_e32 v5, v32, v52
	v_add_f16_e32 v5, v5, v53
	;; [unrolled: 1-line block ×4, first 2 shown]
	s_waitcnt vmcnt(1)
	v_mul_f16_sdwa v5, v28, v47 dst_sel:DWORD dst_unused:UNUSED_PAD src0_sel:DWORD src1_sel:WORD_1
	v_mul_f16_sdwa v6, v25, v48 dst_sel:DWORD dst_unused:UNUSED_PAD src0_sel:DWORD src1_sel:WORD_1
	;; [unrolled: 1-line block ×4, first 2 shown]
	s_waitcnt lgkmcnt(0)
	v_fma_f16 v5, v47, v51, -v5
	v_fma_f16 v6, v48, v63, -v6
	;; [unrolled: 1-line block ×4, first 2 shown]
	v_mul_f16_sdwa v51, v51, v47 dst_sel:DWORD dst_unused:UNUSED_PAD src0_sel:DWORD src1_sel:WORD_1
	v_sub_f16_e32 v52, v5, v6
	v_sub_f16_e32 v55, v53, v54
	v_fma_f16 v28, v28, v47, v51
	v_mul_f16_sdwa v47, v61, v50 dst_sel:DWORD dst_unused:UNUSED_PAD src0_sel:DWORD src1_sel:WORD_1
	v_mul_f16_sdwa v51, v63, v48 dst_sel:DWORD dst_unused:UNUSED_PAD src0_sel:DWORD src1_sel:WORD_1
	v_add_f16_e32 v52, v52, v55
	v_add_f16_e32 v55, v6, v54
	v_fma_f16 v29, v29, v50, v47
	v_fma_f16 v25, v25, v48, v51
	v_mul_f16_sdwa v48, v59, v49 dst_sel:DWORD dst_unused:UNUSED_PAD src0_sel:DWORD src1_sel:WORD_1
	v_fma_f16 v55, v55, -0.5, v68
	v_sub_f16_e32 v47, v28, v29
	v_fma_f16 v27, v27, v49, v48
	v_sub_f16_e32 v62, v6, v5
	v_sub_f16_e32 v63, v54, v53
	v_fma_f16 v50, v47, s3, v55
	v_sub_f16_e32 v48, v25, v27
	v_add_f16_e32 v62, v62, v63
	v_add_f16_e32 v63, v5, v53
	v_fma_f16 v43, v65, s1, v58
	v_fma_f16 v49, v48, s2, v50
	v_sub_f16_e32 v50, v28, v25
	v_sub_f16_e32 v51, v29, v27
	;; [unrolled: 1-line block ×3, first 2 shown]
	v_fma_f16 v63, v63, -0.5, v68
	v_add_f16_e32 v5, v5, v68
	v_add_f16_e32 v50, v50, v51
	;; [unrolled: 1-line block ×3, first 2 shown]
	v_fma_f16 v65, v48, s0, v63
	v_fma_f16 v63, v48, s3, v63
	v_add_f16_e32 v5, v6, v5
	v_fma_f16 v51, v51, -0.5, v23
	v_fma_f16 v65, v47, s2, v65
	v_fma_f16 v63, v47, s4, v63
	;; [unrolled: 1-line block ×3, first 2 shown]
	v_add_f16_e32 v5, v54, v5
	v_fma_f16 v59, v58, s0, v51
	v_sub_f16_e32 v61, v6, v54
	v_fma_f16 v47, v48, s4, v47
	v_add_f16_e32 v48, v53, v5
	v_fma_f16 v5, v58, s3, v51
	ds_read_u16 v0, v0
	ds_read_u16 v6, v12
	v_fma_f16 v59, v61, s4, v59
	v_fma_f16 v5, v61, s2, v5
	;; [unrolled: 1-line block ×4, first 2 shown]
	v_add_f16_e32 v5, v23, v28
	v_sub_f16_e32 v67, v25, v28
	v_sub_f16_e32 v73, v27, v29
	v_add_f16_e32 v5, v5, v25
	v_add_f16_e32 v67, v67, v73
	;; [unrolled: 1-line block ×4, first 2 shown]
	v_fma_f16 v73, v73, -0.5, v23
	v_add_f16_e32 v23, v29, v5
	v_fma_f16 v44, v74, s1, v44
	v_fma_f16 v65, v62, s1, v65
	;; [unrolled: 1-line block ×10, first 2 shown]
	s_waitcnt vmcnt(0)
	v_mul_f16_sdwa v5, v14, v33 dst_sel:DWORD dst_unused:UNUSED_PAD src0_sel:DWORD src1_sel:WORD_1
	v_mul_f16_sdwa v12, v19, v34 dst_sel:DWORD dst_unused:UNUSED_PAD src0_sel:DWORD src1_sel:WORD_1
	;; [unrolled: 1-line block ×4, first 2 shown]
	s_waitcnt lgkmcnt(0)
	v_fma_f16 v5, v33, v6, -v5
	v_fma_f16 v12, v34, v64, -v12
	;; [unrolled: 1-line block ×4, first 2 shown]
	v_sub_f16_e32 v25, v5, v12
	v_sub_f16_e32 v29, v27, v28
	;; [unrolled: 1-line block ×4, first 2 shown]
	v_add_f16_e32 v25, v25, v29
	v_add_f16_e32 v29, v12, v28
	;; [unrolled: 1-line block ×4, first 2 shown]
	v_fma_f16 v29, v29, -0.5, v0
	v_mul_f16_sdwa v6, v6, v33 dst_sel:DWORD dst_unused:UNUSED_PAD src0_sel:DWORD src1_sel:WORD_1
	v_fma_f16 v55, v55, -0.5, v0
	v_add_f16_e32 v0, v5, v0
	v_fma_f16 v6, v14, v33, v6
	v_mul_f16_sdwa v14, v56, v36 dst_sel:DWORD dst_unused:UNUSED_PAD src0_sel:DWORD src1_sel:WORD_1
	v_add_f16_e32 v0, v12, v0
	v_fma_f16 v14, v21, v36, v14
	v_mul_f16_sdwa v36, v64, v34 dst_sel:DWORD dst_unused:UNUSED_PAD src0_sel:DWORD src1_sel:WORD_1
	v_sub_f16_e32 v51, v5, v27
	v_add_f16_e32 v0, v28, v0
	v_mul_hi_u32 v5, v11, s5
	v_fma_f16 v19, v19, v34, v36
	v_mul_f16_sdwa v34, v60, v35 dst_sel:DWORD dst_unused:UNUSED_PAD src0_sel:DWORD src1_sel:WORD_1
	v_add_f16_e32 v27, v27, v0
	v_add_f16_e32 v0, v13, v6
	v_fma_f16 v20, v20, v35, v34
	v_add_f16_e32 v0, v0, v19
	v_sub_f16_e32 v58, v19, v6
	v_sub_f16_e32 v60, v20, v14
	v_add_f16_e32 v0, v0, v20
	v_sub_f16_e32 v21, v6, v14
	v_sub_f16_e32 v36, v14, v20
	v_add_f16_e32 v58, v58, v60
	v_add_f16_e32 v60, v6, v14
	v_add_f16_e32 v14, v14, v0
	v_sub_u32_e32 v0, v11, v5
	v_lshrrev_b32_e32 v0, 1, v0
	v_add_u32_e32 v0, v0, v5
	v_lshrrev_b32_e32 v0, 8, v0
	v_sub_f16_e32 v35, v6, v19
	v_mul_u32_u24_e32 v0, 0x13b, v0
	v_sub_f16_e32 v34, v19, v20
	v_add_f16_e32 v35, v35, v36
	v_add_f16_e32 v36, v19, v20
	v_sub_u32_e32 v19, v11, v0
	v_mad_u64_u32 v[5:6], s[6:7], s20, v19, 0
	v_fma_f16 v0, v34, s0, v55
	v_fma_f16 v0, v21, s2, v0
	;; [unrolled: 1-line block ×3, first 2 shown]
	v_mov_b32_e32 v0, v6
	v_fma_f16 v36, v36, -0.5, v13
	v_sub_f16_e32 v53, v12, v28
	v_fma_f16 v60, v60, -0.5, v13
	v_mad_u64_u32 v[12:13], s[6:7], s21, v19, v[0:1]
	v_fma_f16 v33, v21, s3, v29
	v_fma_f16 v29, v21, s0, v29
	;; [unrolled: 1-line block ×17, first 2 shown]
	v_mov_b32_e32 v6, v12
	v_mov_b32_e32 v0, s11
	v_add_co_u32_e32 v12, vcc, s10, v3
	v_add_u32_e32 v21, 0x13b, v19
	v_fma_f16 v63, v67, s1, v63
	v_fma_f16 v52, v35, s1, v52
	v_fma_f16 v56, v54, s1, v56
	v_fma_f16 v61, v58, s1, v61
	v_fma_f16 v29, v35, s1, v29
	v_addc_co_u32_e32 v4, vcc, v0, v4, vcc
	v_lshlrev_b64 v[0:1], 2, v[1:2]
	v_mad_u64_u32 v[2:3], s[0:1], s20, v21, 0
	v_add_co_u32_e32 v12, vcc, v12, v0
	v_addc_co_u32_e32 v28, vcc, v4, v1, vcc
	v_lshlrev_b64 v[0:1], 2, v[5:6]
	v_mad_u64_u32 v[3:4], s[0:1], s21, v21, v[3:4]
	v_add_co_u32_e32 v0, vcc, v12, v0
	v_addc_co_u32_e32 v1, vcc, v28, v1, vcc
	v_pack_b32_f16 v4, v14, v27
	global_store_dword v[0:1], v4, off
	v_add_u32_e32 v4, 0x276, v19
	v_lshlrev_b64 v[0:1], 2, v[2:3]
	v_mad_u64_u32 v[2:3], s[0:1], s20, v4, 0
	v_add_u32_e32 v14, 0x3b1, v19
	v_add_co_u32_e32 v0, vcc, v12, v0
	v_mad_u64_u32 v[3:4], s[0:1], s21, v4, v[3:4]
	v_mad_u64_u32 v[4:5], s[0:1], s20, v14, 0
	v_addc_co_u32_e32 v1, vcc, v28, v1, vcc
	v_pack_b32_f16 v6, v29, v25
	global_store_dword v[0:1], v6, off
	v_lshlrev_b64 v[0:1], 2, v[2:3]
	v_mov_b32_e32 v2, v5
	v_mad_u64_u32 v[2:3], s[0:1], s21, v14, v[2:3]
	v_add_co_u32_e32 v0, vcc, v12, v0
	v_addc_co_u32_e32 v1, vcc, v28, v1, vcc
	v_pack_b32_f16 v3, v61, v56
	v_mov_b32_e32 v5, v2
	global_store_dword v[0:1], v3, off
	v_lshlrev_b64 v[0:1], 2, v[4:5]
	v_add_u32_e32 v4, 0x4ec, v19
	v_mad_u64_u32 v[2:3], s[0:1], s20, v4, 0
	v_add_co_u32_e32 v0, vcc, v12, v0
	v_mad_u64_u32 v[3:4], s[0:1], s21, v4, v[3:4]
	v_add_u32_e32 v4, 63, v11
	v_mul_hi_u32 v6, v4, s5
	v_addc_co_u32_e32 v1, vcc, v28, v1, vcc
	v_pack_b32_f16 v5, v13, v20
	global_store_dword v[0:1], v5, off
	v_lshlrev_b64 v[0:1], 2, v[2:3]
	v_sub_u32_e32 v2, v4, v6
	v_lshrrev_b32_e32 v2, 1, v2
	v_add_u32_e32 v2, v2, v6
	v_lshrrev_b32_e32 v2, 8, v2
	v_mul_u32_u24_e32 v3, 0x13b, v2
	v_sub_u32_e32 v3, v4, v3
	s_movk_i32 s0, 0x627
	v_mad_u32_u24 v6, v2, s0, v3
	v_mad_u64_u32 v[2:3], s[2:3], s20, v6, 0
	v_add_u32_e32 v14, 0x13b, v6
	v_add_co_u32_e32 v0, vcc, v12, v0
	v_mad_u64_u32 v[3:4], s[2:3], s21, v6, v[3:4]
	v_mad_u64_u32 v[4:5], s[2:3], s20, v14, 0
	v_addc_co_u32_e32 v1, vcc, v28, v1, vcc
	v_pack_b32_f16 v13, v52, v33
	global_store_dword v[0:1], v13, off
	v_lshlrev_b64 v[0:1], 2, v[2:3]
	v_mov_b32_e32 v2, v5
	v_mad_u64_u32 v[2:3], s[2:3], s21, v14, v[2:3]
	v_add_co_u32_e32 v0, vcc, v12, v0
	v_addc_co_u32_e32 v1, vcc, v28, v1, vcc
	v_pack_b32_f16 v3, v23, v48
	v_mov_b32_e32 v5, v2
	global_store_dword v[0:1], v3, off
	v_lshlrev_b64 v[0:1], 2, v[4:5]
	v_add_u32_e32 v4, 0x276, v6
	v_mad_u64_u32 v[2:3], s[2:3], s20, v4, 0
	v_add_u32_e32 v14, 0x3b1, v6
	v_add_co_u32_e32 v0, vcc, v12, v0
	v_mad_u64_u32 v[3:4], s[2:3], s21, v4, v[3:4]
	v_mad_u64_u32 v[4:5], s[2:3], s20, v14, 0
	v_addc_co_u32_e32 v1, vcc, v28, v1, vcc
	v_pack_b32_f16 v13, v50, v47
	global_store_dword v[0:1], v13, off
	v_lshlrev_b64 v[0:1], 2, v[2:3]
	v_mov_b32_e32 v2, v5
	v_mad_u64_u32 v[2:3], s[2:3], s21, v14, v[2:3]
	v_add_co_u32_e32 v0, vcc, v12, v0
	v_addc_co_u32_e32 v1, vcc, v28, v1, vcc
	v_pack_b32_f16 v3, v63, v62
	v_mov_b32_e32 v5, v2
	global_store_dword v[0:1], v3, off
	v_lshlrev_b64 v[0:1], 2, v[4:5]
	v_add_u32_e32 v4, 0x4ec, v6
	v_mad_u64_u32 v[2:3], s[2:3], s20, v4, 0
	v_add_co_u32_e32 v0, vcc, v12, v0
	v_mad_u64_u32 v[3:4], s[2:3], s21, v4, v[3:4]
	v_add_u32_e32 v4, 0x7e, v11
	v_mul_hi_u32 v6, v4, s5
	v_addc_co_u32_e32 v1, vcc, v28, v1, vcc
	v_pack_b32_f16 v5, v74, v65
	global_store_dword v[0:1], v5, off
	v_lshlrev_b64 v[0:1], 2, v[2:3]
	v_sub_u32_e32 v2, v4, v6
	v_lshrrev_b32_e32 v2, 1, v2
	v_add_u32_e32 v2, v2, v6
	v_lshrrev_b32_e32 v2, 8, v2
	v_mul_u32_u24_e32 v3, 0x13b, v2
	v_sub_u32_e32 v3, v4, v3
	v_mad_u32_u24 v6, v2, s0, v3
	v_mad_u64_u32 v[2:3], s[2:3], s20, v6, 0
	v_add_u32_e32 v14, 0x13b, v6
	v_add_co_u32_e32 v0, vcc, v12, v0
	v_mad_u64_u32 v[3:4], s[2:3], s21, v6, v[3:4]
	v_mad_u64_u32 v[4:5], s[2:3], s20, v14, 0
	v_addc_co_u32_e32 v1, vcc, v28, v1, vcc
	v_pack_b32_f16 v13, v59, v49
	global_store_dword v[0:1], v13, off
	v_lshlrev_b64 v[0:1], 2, v[2:3]
	v_mov_b32_e32 v2, v5
	v_mad_u64_u32 v[2:3], s[2:3], s21, v14, v[2:3]
	v_add_co_u32_e32 v0, vcc, v12, v0
	v_addc_co_u32_e32 v1, vcc, v28, v1, vcc
	v_pack_b32_f16 v3, v32, v57
	v_mov_b32_e32 v5, v2
	global_store_dword v[0:1], v3, off
	v_lshlrev_b64 v[0:1], 2, v[4:5]
	v_add_u32_e32 v4, 0x276, v6
	v_mad_u64_u32 v[2:3], s[2:3], s20, v4, 0
	v_add_u32_e32 v14, 0x3b1, v6
	v_add_co_u32_e32 v0, vcc, v12, v0
	v_mad_u64_u32 v[3:4], s[2:3], s21, v4, v[3:4]
	v_mad_u64_u32 v[4:5], s[2:3], s20, v14, 0
	v_addc_co_u32_e32 v1, vcc, v28, v1, vcc
	v_pack_b32_f16 v13, v70, v69
	global_store_dword v[0:1], v13, off
	v_lshlrev_b64 v[0:1], 2, v[2:3]
	v_mov_b32_e32 v2, v5
	v_mad_u64_u32 v[2:3], s[2:3], s21, v14, v[2:3]
	v_add_co_u32_e32 v0, vcc, v12, v0
	v_addc_co_u32_e32 v1, vcc, v28, v1, vcc
	v_pack_b32_f16 v3, v43, v72
	v_mov_b32_e32 v5, v2
	global_store_dword v[0:1], v3, off
	v_lshlrev_b64 v[0:1], 2, v[4:5]
	v_add_u32_e32 v4, 0x4ec, v6
	v_mad_u64_u32 v[2:3], s[2:3], s20, v4, 0
	v_add_co_u32_e32 v0, vcc, v12, v0
	v_mad_u64_u32 v[3:4], s[2:3], s21, v4, v[3:4]
	v_add_u32_e32 v4, 0xbd, v11
	v_mul_hi_u32 v6, v4, s5
	v_addc_co_u32_e32 v1, vcc, v28, v1, vcc
	v_pack_b32_f16 v5, v66, v71
	global_store_dword v[0:1], v5, off
	v_lshlrev_b64 v[0:1], 2, v[2:3]
	v_sub_u32_e32 v2, v4, v6
	v_lshrrev_b32_e32 v2, 1, v2
	v_add_u32_e32 v2, v2, v6
	v_lshrrev_b32_e32 v2, 8, v2
	v_mul_u32_u24_e32 v3, 0x13b, v2
	v_sub_u32_e32 v3, v4, v3
	v_mad_u32_u24 v6, v2, s0, v3
	v_mad_u64_u32 v[2:3], s[2:3], s20, v6, 0
	v_pack_b32_f16 v7, v8, v7
	v_add_u32_e32 v8, 0x13b, v6
	v_mad_u64_u32 v[3:4], s[2:3], s21, v6, v[3:4]
	v_mad_u64_u32 v[4:5], s[2:3], s20, v8, 0
	v_add_co_u32_e32 v0, vcc, v12, v0
	v_addc_co_u32_e32 v1, vcc, v28, v1, vcc
	global_store_dword v[0:1], v7, off
	v_lshlrev_b64 v[0:1], 2, v[2:3]
	v_mov_b32_e32 v2, v5
	v_mad_u64_u32 v[2:3], s[2:3], s21, v8, v[2:3]
	v_add_co_u32_e32 v0, vcc, v12, v0
	v_addc_co_u32_e32 v1, vcc, v28, v1, vcc
	v_pack_b32_f16 v3, v46, v45
	v_mov_b32_e32 v5, v2
	global_store_dword v[0:1], v3, off
	v_lshlrev_b64 v[0:1], 2, v[4:5]
	v_add_u32_e32 v4, 0x276, v6
	v_mad_u64_u32 v[2:3], s[2:3], s20, v4, 0
	v_add_u32_e32 v8, 0x3b1, v6
	v_add_co_u32_e32 v0, vcc, v12, v0
	v_mad_u64_u32 v[3:4], s[2:3], s21, v4, v[3:4]
	v_mad_u64_u32 v[4:5], s[2:3], s20, v8, 0
	v_addc_co_u32_e32 v1, vcc, v28, v1, vcc
	v_pack_b32_f16 v7, v44, v41
	global_store_dword v[0:1], v7, off
	v_lshlrev_b64 v[0:1], 2, v[2:3]
	v_mov_b32_e32 v2, v5
	v_mad_u64_u32 v[2:3], s[2:3], s21, v8, v[2:3]
	v_add_co_u32_e32 v0, vcc, v12, v0
	v_addc_co_u32_e32 v1, vcc, v28, v1, vcc
	v_pack_b32_f16 v3, v42, v40
	v_mov_b32_e32 v5, v2
	global_store_dword v[0:1], v3, off
	v_lshlrev_b64 v[0:1], 2, v[4:5]
	v_add_u32_e32 v4, 0x4ec, v6
	v_mad_u64_u32 v[2:3], s[2:3], s20, v4, 0
	v_add_u32_e32 v5, 0xfc, v11
	v_mul_hi_u32 v7, v5, s5
	v_mad_u64_u32 v[3:4], s[2:3], s21, v4, v[3:4]
	v_add_co_u32_e32 v0, vcc, v12, v0
	v_sub_u32_e32 v4, v5, v7
	v_lshrrev_b32_e32 v4, 1, v4
	v_add_u32_e32 v4, v4, v7
	v_lshrrev_b32_e32 v4, 8, v4
	v_mul_u32_u24_e32 v7, 0x13b, v4
	v_sub_u32_e32 v5, v5, v7
	v_mad_u32_u24 v7, v4, s0, v5
	v_mad_u64_u32 v[4:5], s[0:1], s20, v7, 0
	v_addc_co_u32_e32 v1, vcc, v28, v1, vcc
	v_pack_b32_f16 v6, v38, v9
	global_store_dword v[0:1], v6, off
	v_lshlrev_b64 v[0:1], 2, v[2:3]
	v_mov_b32_e32 v2, v5
	v_mad_u64_u32 v[2:3], s[0:1], s21, v7, v[2:3]
	v_add_co_u32_e32 v0, vcc, v12, v0
	v_addc_co_u32_e32 v1, vcc, v28, v1, vcc
	v_pack_b32_f16 v3, v39, v37
	v_mov_b32_e32 v5, v2
	global_store_dword v[0:1], v3, off
	v_lshlrev_b64 v[0:1], 2, v[4:5]
	v_add_u32_e32 v4, 0x13b, v7
	v_mad_u64_u32 v[2:3], s[0:1], s20, v4, 0
	v_add_u32_e32 v8, 0x276, v7
	v_add_co_u32_e32 v0, vcc, v12, v0
	v_mad_u64_u32 v[3:4], s[0:1], s21, v4, v[3:4]
	v_mad_u64_u32 v[4:5], s[0:1], s20, v8, 0
	v_addc_co_u32_e32 v1, vcc, v28, v1, vcc
	v_pack_b32_f16 v6, v31, v30
	global_store_dword v[0:1], v6, off
	v_lshlrev_b64 v[0:1], 2, v[2:3]
	v_mov_b32_e32 v2, v5
	v_mad_u64_u32 v[2:3], s[0:1], s21, v8, v[2:3]
	v_add_co_u32_e32 v0, vcc, v12, v0
	v_addc_co_u32_e32 v1, vcc, v28, v1, vcc
	v_pack_b32_f16 v3, v26, v24
	v_mov_b32_e32 v5, v2
	global_store_dword v[0:1], v3, off
	v_lshlrev_b64 v[0:1], 2, v[4:5]
	v_add_u32_e32 v4, 0x3b1, v7
	v_mad_u64_u32 v[2:3], s[0:1], s20, v4, 0
	v_add_u32_e32 v7, 0x4ec, v7
	v_add_co_u32_e32 v0, vcc, v12, v0
	v_mad_u64_u32 v[3:4], s[0:1], s21, v4, v[3:4]
	v_mad_u64_u32 v[4:5], s[0:1], s20, v7, 0
	v_addc_co_u32_e32 v1, vcc, v28, v1, vcc
	v_pack_b32_f16 v6, v22, v18
	global_store_dword v[0:1], v6, off
	v_lshlrev_b64 v[0:1], 2, v[2:3]
	v_mov_b32_e32 v2, v5
	v_mad_u64_u32 v[2:3], s[0:1], s21, v7, v[2:3]
	v_add_co_u32_e32 v0, vcc, v12, v0
	v_addc_co_u32_e32 v1, vcc, v28, v1, vcc
	v_pack_b32_f16 v3, v15, v10
	v_mov_b32_e32 v5, v2
	global_store_dword v[0:1], v3, off
	v_lshlrev_b64 v[0:1], 2, v[4:5]
	v_pack_b32_f16 v2, v17, v16
	v_add_co_u32_e32 v0, vcc, v12, v0
	v_addc_co_u32_e32 v1, vcc, v28, v1, vcc
	global_store_dword v[0:1], v2, off
.LBB0_37:
	s_endpgm
	.section	.rodata,"a",@progbits
	.p2align	6, 0x0
	.amdhsa_kernel fft_rtc_back_len1575_factors_3_3_5_7_5_wgs_63_tpt_63_halfLds_half_op_CI_CI_sbrr_dirReg
		.amdhsa_group_segment_fixed_size 0
		.amdhsa_private_segment_fixed_size 0
		.amdhsa_kernarg_size 104
		.amdhsa_user_sgpr_count 6
		.amdhsa_user_sgpr_private_segment_buffer 1
		.amdhsa_user_sgpr_dispatch_ptr 0
		.amdhsa_user_sgpr_queue_ptr 0
		.amdhsa_user_sgpr_kernarg_segment_ptr 1
		.amdhsa_user_sgpr_dispatch_id 0
		.amdhsa_user_sgpr_flat_scratch_init 0
		.amdhsa_user_sgpr_private_segment_size 0
		.amdhsa_uses_dynamic_stack 0
		.amdhsa_system_sgpr_private_segment_wavefront_offset 0
		.amdhsa_system_sgpr_workgroup_id_x 1
		.amdhsa_system_sgpr_workgroup_id_y 0
		.amdhsa_system_sgpr_workgroup_id_z 0
		.amdhsa_system_sgpr_workgroup_info 0
		.amdhsa_system_vgpr_workitem_id 0
		.amdhsa_next_free_vgpr 126
		.amdhsa_next_free_sgpr 32
		.amdhsa_reserve_vcc 1
		.amdhsa_reserve_flat_scratch 0
		.amdhsa_float_round_mode_32 0
		.amdhsa_float_round_mode_16_64 0
		.amdhsa_float_denorm_mode_32 3
		.amdhsa_float_denorm_mode_16_64 3
		.amdhsa_dx10_clamp 1
		.amdhsa_ieee_mode 1
		.amdhsa_fp16_overflow 0
		.amdhsa_exception_fp_ieee_invalid_op 0
		.amdhsa_exception_fp_denorm_src 0
		.amdhsa_exception_fp_ieee_div_zero 0
		.amdhsa_exception_fp_ieee_overflow 0
		.amdhsa_exception_fp_ieee_underflow 0
		.amdhsa_exception_fp_ieee_inexact 0
		.amdhsa_exception_int_div_zero 0
	.end_amdhsa_kernel
	.text
.Lfunc_end0:
	.size	fft_rtc_back_len1575_factors_3_3_5_7_5_wgs_63_tpt_63_halfLds_half_op_CI_CI_sbrr_dirReg, .Lfunc_end0-fft_rtc_back_len1575_factors_3_3_5_7_5_wgs_63_tpt_63_halfLds_half_op_CI_CI_sbrr_dirReg
                                        ; -- End function
	.section	.AMDGPU.csdata,"",@progbits
; Kernel info:
; codeLenInByte = 19776
; NumSgprs: 36
; NumVgprs: 126
; ScratchSize: 0
; MemoryBound: 0
; FloatMode: 240
; IeeeMode: 1
; LDSByteSize: 0 bytes/workgroup (compile time only)
; SGPRBlocks: 4
; VGPRBlocks: 31
; NumSGPRsForWavesPerEU: 36
; NumVGPRsForWavesPerEU: 126
; Occupancy: 2
; WaveLimiterHint : 1
; COMPUTE_PGM_RSRC2:SCRATCH_EN: 0
; COMPUTE_PGM_RSRC2:USER_SGPR: 6
; COMPUTE_PGM_RSRC2:TRAP_HANDLER: 0
; COMPUTE_PGM_RSRC2:TGID_X_EN: 1
; COMPUTE_PGM_RSRC2:TGID_Y_EN: 0
; COMPUTE_PGM_RSRC2:TGID_Z_EN: 0
; COMPUTE_PGM_RSRC2:TIDIG_COMP_CNT: 0
	.type	__hip_cuid_9e225d9b4c34d06a,@object ; @__hip_cuid_9e225d9b4c34d06a
	.section	.bss,"aw",@nobits
	.globl	__hip_cuid_9e225d9b4c34d06a
__hip_cuid_9e225d9b4c34d06a:
	.byte	0                               ; 0x0
	.size	__hip_cuid_9e225d9b4c34d06a, 1

	.ident	"AMD clang version 19.0.0git (https://github.com/RadeonOpenCompute/llvm-project roc-6.4.0 25133 c7fe45cf4b819c5991fe208aaa96edf142730f1d)"
	.section	".note.GNU-stack","",@progbits
	.addrsig
	.addrsig_sym __hip_cuid_9e225d9b4c34d06a
	.amdgpu_metadata
---
amdhsa.kernels:
  - .args:
      - .actual_access:  read_only
        .address_space:  global
        .offset:         0
        .size:           8
        .value_kind:     global_buffer
      - .offset:         8
        .size:           8
        .value_kind:     by_value
      - .actual_access:  read_only
        .address_space:  global
        .offset:         16
        .size:           8
        .value_kind:     global_buffer
      - .actual_access:  read_only
        .address_space:  global
        .offset:         24
        .size:           8
        .value_kind:     global_buffer
      - .actual_access:  read_only
        .address_space:  global
        .offset:         32
        .size:           8
        .value_kind:     global_buffer
      - .offset:         40
        .size:           8
        .value_kind:     by_value
      - .actual_access:  read_only
        .address_space:  global
        .offset:         48
        .size:           8
        .value_kind:     global_buffer
      - .actual_access:  read_only
        .address_space:  global
        .offset:         56
        .size:           8
        .value_kind:     global_buffer
      - .offset:         64
        .size:           4
        .value_kind:     by_value
      - .actual_access:  read_only
        .address_space:  global
        .offset:         72
        .size:           8
        .value_kind:     global_buffer
      - .actual_access:  read_only
        .address_space:  global
        .offset:         80
        .size:           8
        .value_kind:     global_buffer
      - .actual_access:  read_only
        .address_space:  global
        .offset:         88
        .size:           8
        .value_kind:     global_buffer
      - .actual_access:  write_only
        .address_space:  global
        .offset:         96
        .size:           8
        .value_kind:     global_buffer
    .group_segment_fixed_size: 0
    .kernarg_segment_align: 8
    .kernarg_segment_size: 104
    .language:       OpenCL C
    .language_version:
      - 2
      - 0
    .max_flat_workgroup_size: 63
    .name:           fft_rtc_back_len1575_factors_3_3_5_7_5_wgs_63_tpt_63_halfLds_half_op_CI_CI_sbrr_dirReg
    .private_segment_fixed_size: 0
    .sgpr_count:     36
    .sgpr_spill_count: 0
    .symbol:         fft_rtc_back_len1575_factors_3_3_5_7_5_wgs_63_tpt_63_halfLds_half_op_CI_CI_sbrr_dirReg.kd
    .uniform_work_group_size: 1
    .uses_dynamic_stack: false
    .vgpr_count:     126
    .vgpr_spill_count: 0
    .wavefront_size: 64
amdhsa.target:   amdgcn-amd-amdhsa--gfx906
amdhsa.version:
  - 1
  - 2
...

	.end_amdgpu_metadata
